;; amdgpu-corpus repo=ROCm/rocFFT kind=compiled arch=gfx906 opt=O3
	.text
	.amdgcn_target "amdgcn-amd-amdhsa--gfx906"
	.amdhsa_code_object_version 6
	.protected	fft_rtc_back_len840_factors_2_2_2_3_5_7_wgs_56_tpt_56_halfLds_dp_ip_CI_sbrr_dirReg ; -- Begin function fft_rtc_back_len840_factors_2_2_2_3_5_7_wgs_56_tpt_56_halfLds_dp_ip_CI_sbrr_dirReg
	.globl	fft_rtc_back_len840_factors_2_2_2_3_5_7_wgs_56_tpt_56_halfLds_dp_ip_CI_sbrr_dirReg
	.p2align	8
	.type	fft_rtc_back_len840_factors_2_2_2_3_5_7_wgs_56_tpt_56_halfLds_dp_ip_CI_sbrr_dirReg,@function
fft_rtc_back_len840_factors_2_2_2_3_5_7_wgs_56_tpt_56_halfLds_dp_ip_CI_sbrr_dirReg: ; @fft_rtc_back_len840_factors_2_2_2_3_5_7_wgs_56_tpt_56_halfLds_dp_ip_CI_sbrr_dirReg
; %bb.0:
	s_load_dwordx2 s[14:15], s[4:5], 0x18
	s_load_dwordx4 s[8:11], s[4:5], 0x0
	s_load_dwordx2 s[12:13], s[4:5], 0x50
	v_mul_u32_u24_e32 v1, 0x493, v0
	v_add_u32_sdwa v5, s6, v1 dst_sel:DWORD dst_unused:UNUSED_PAD src0_sel:DWORD src1_sel:WORD_1
	s_waitcnt lgkmcnt(0)
	s_load_dwordx2 s[2:3], s[14:15], 0x0
	v_cmp_lt_u64_e64 s[0:1], s[10:11], 2
	v_mov_b32_e32 v3, 0
	v_mov_b32_e32 v1, 0
	;; [unrolled: 1-line block ×3, first 2 shown]
	s_and_b64 vcc, exec, s[0:1]
	v_mov_b32_e32 v2, 0
	s_cbranch_vccnz .LBB0_8
; %bb.1:
	s_load_dwordx2 s[0:1], s[4:5], 0x10
	s_add_u32 s6, s14, 8
	s_addc_u32 s7, s15, 0
	v_mov_b32_e32 v1, 0
	v_mov_b32_e32 v2, 0
	s_waitcnt lgkmcnt(0)
	s_add_u32 s16, s0, 8
	s_addc_u32 s17, s1, 0
	s_mov_b64 s[18:19], 1
.LBB0_2:                                ; =>This Inner Loop Header: Depth=1
	s_load_dwordx2 s[20:21], s[16:17], 0x0
                                        ; implicit-def: $vgpr7_vgpr8
	s_waitcnt lgkmcnt(0)
	v_or_b32_e32 v4, s21, v6
	v_cmp_ne_u64_e32 vcc, 0, v[3:4]
	s_and_saveexec_b64 s[0:1], vcc
	s_xor_b64 s[22:23], exec, s[0:1]
	s_cbranch_execz .LBB0_4
; %bb.3:                                ;   in Loop: Header=BB0_2 Depth=1
	v_cvt_f32_u32_e32 v4, s20
	v_cvt_f32_u32_e32 v7, s21
	s_sub_u32 s0, 0, s20
	s_subb_u32 s1, 0, s21
	v_mac_f32_e32 v4, 0x4f800000, v7
	v_rcp_f32_e32 v4, v4
	v_mul_f32_e32 v4, 0x5f7ffffc, v4
	v_mul_f32_e32 v7, 0x2f800000, v4
	v_trunc_f32_e32 v7, v7
	v_mac_f32_e32 v4, 0xcf800000, v7
	v_cvt_u32_f32_e32 v7, v7
	v_cvt_u32_f32_e32 v4, v4
	v_mul_lo_u32 v8, s0, v7
	v_mul_hi_u32 v9, s0, v4
	v_mul_lo_u32 v11, s1, v4
	v_mul_lo_u32 v10, s0, v4
	v_add_u32_e32 v8, v9, v8
	v_add_u32_e32 v8, v8, v11
	v_mul_hi_u32 v9, v4, v10
	v_mul_lo_u32 v11, v4, v8
	v_mul_hi_u32 v13, v4, v8
	v_mul_hi_u32 v12, v7, v10
	v_mul_lo_u32 v10, v7, v10
	v_mul_hi_u32 v14, v7, v8
	v_add_co_u32_e32 v9, vcc, v9, v11
	v_addc_co_u32_e32 v11, vcc, 0, v13, vcc
	v_mul_lo_u32 v8, v7, v8
	v_add_co_u32_e32 v9, vcc, v9, v10
	v_addc_co_u32_e32 v9, vcc, v11, v12, vcc
	v_addc_co_u32_e32 v10, vcc, 0, v14, vcc
	v_add_co_u32_e32 v8, vcc, v9, v8
	v_addc_co_u32_e32 v9, vcc, 0, v10, vcc
	v_add_co_u32_e32 v4, vcc, v4, v8
	v_addc_co_u32_e32 v7, vcc, v7, v9, vcc
	v_mul_lo_u32 v8, s0, v7
	v_mul_hi_u32 v9, s0, v4
	v_mul_lo_u32 v10, s1, v4
	v_mul_lo_u32 v11, s0, v4
	v_add_u32_e32 v8, v9, v8
	v_add_u32_e32 v8, v8, v10
	v_mul_lo_u32 v12, v4, v8
	v_mul_hi_u32 v13, v4, v11
	v_mul_hi_u32 v14, v4, v8
	;; [unrolled: 1-line block ×3, first 2 shown]
	v_mul_lo_u32 v11, v7, v11
	v_mul_hi_u32 v9, v7, v8
	v_add_co_u32_e32 v12, vcc, v13, v12
	v_addc_co_u32_e32 v13, vcc, 0, v14, vcc
	v_mul_lo_u32 v8, v7, v8
	v_add_co_u32_e32 v11, vcc, v12, v11
	v_addc_co_u32_e32 v10, vcc, v13, v10, vcc
	v_addc_co_u32_e32 v9, vcc, 0, v9, vcc
	v_add_co_u32_e32 v8, vcc, v10, v8
	v_addc_co_u32_e32 v9, vcc, 0, v9, vcc
	v_add_co_u32_e32 v4, vcc, v4, v8
	v_addc_co_u32_e32 v9, vcc, v7, v9, vcc
	v_mad_u64_u32 v[7:8], s[0:1], v5, v9, 0
	v_mul_hi_u32 v10, v5, v4
	v_add_co_u32_e32 v11, vcc, v10, v7
	v_addc_co_u32_e32 v12, vcc, 0, v8, vcc
	v_mad_u64_u32 v[7:8], s[0:1], v6, v4, 0
	v_mad_u64_u32 v[9:10], s[0:1], v6, v9, 0
	v_add_co_u32_e32 v4, vcc, v11, v7
	v_addc_co_u32_e32 v4, vcc, v12, v8, vcc
	v_addc_co_u32_e32 v7, vcc, 0, v10, vcc
	v_add_co_u32_e32 v4, vcc, v4, v9
	v_addc_co_u32_e32 v9, vcc, 0, v7, vcc
	v_mul_lo_u32 v10, s21, v4
	v_mul_lo_u32 v11, s20, v9
	v_mad_u64_u32 v[7:8], s[0:1], s20, v4, 0
	v_add3_u32 v8, v8, v11, v10
	v_sub_u32_e32 v10, v6, v8
	v_mov_b32_e32 v11, s21
	v_sub_co_u32_e32 v7, vcc, v5, v7
	v_subb_co_u32_e64 v10, s[0:1], v10, v11, vcc
	v_subrev_co_u32_e64 v11, s[0:1], s20, v7
	v_subbrev_co_u32_e64 v10, s[0:1], 0, v10, s[0:1]
	v_cmp_le_u32_e64 s[0:1], s21, v10
	v_cndmask_b32_e64 v12, 0, -1, s[0:1]
	v_cmp_le_u32_e64 s[0:1], s20, v11
	v_cndmask_b32_e64 v11, 0, -1, s[0:1]
	v_cmp_eq_u32_e64 s[0:1], s21, v10
	v_cndmask_b32_e64 v10, v12, v11, s[0:1]
	v_add_co_u32_e64 v11, s[0:1], 2, v4
	v_addc_co_u32_e64 v12, s[0:1], 0, v9, s[0:1]
	v_add_co_u32_e64 v13, s[0:1], 1, v4
	v_addc_co_u32_e64 v14, s[0:1], 0, v9, s[0:1]
	v_subb_co_u32_e32 v8, vcc, v6, v8, vcc
	v_cmp_ne_u32_e64 s[0:1], 0, v10
	v_cmp_le_u32_e32 vcc, s21, v8
	v_cndmask_b32_e64 v10, v14, v12, s[0:1]
	v_cndmask_b32_e64 v12, 0, -1, vcc
	v_cmp_le_u32_e32 vcc, s20, v7
	v_cndmask_b32_e64 v7, 0, -1, vcc
	v_cmp_eq_u32_e32 vcc, s21, v8
	v_cndmask_b32_e32 v7, v12, v7, vcc
	v_cmp_ne_u32_e32 vcc, 0, v7
	v_cndmask_b32_e64 v7, v13, v11, s[0:1]
	v_cndmask_b32_e32 v8, v9, v10, vcc
	v_cndmask_b32_e32 v7, v4, v7, vcc
.LBB0_4:                                ;   in Loop: Header=BB0_2 Depth=1
	s_andn2_saveexec_b64 s[0:1], s[22:23]
	s_cbranch_execz .LBB0_6
; %bb.5:                                ;   in Loop: Header=BB0_2 Depth=1
	v_cvt_f32_u32_e32 v4, s20
	s_sub_i32 s22, 0, s20
	v_rcp_iflag_f32_e32 v4, v4
	v_mul_f32_e32 v4, 0x4f7ffffe, v4
	v_cvt_u32_f32_e32 v4, v4
	v_mul_lo_u32 v7, s22, v4
	v_mul_hi_u32 v7, v4, v7
	v_add_u32_e32 v4, v4, v7
	v_mul_hi_u32 v4, v5, v4
	v_mul_lo_u32 v7, v4, s20
	v_add_u32_e32 v8, 1, v4
	v_sub_u32_e32 v7, v5, v7
	v_subrev_u32_e32 v9, s20, v7
	v_cmp_le_u32_e32 vcc, s20, v7
	v_cndmask_b32_e32 v7, v7, v9, vcc
	v_cndmask_b32_e32 v4, v4, v8, vcc
	v_add_u32_e32 v8, 1, v4
	v_cmp_le_u32_e32 vcc, s20, v7
	v_cndmask_b32_e32 v7, v4, v8, vcc
	v_mov_b32_e32 v8, v3
.LBB0_6:                                ;   in Loop: Header=BB0_2 Depth=1
	s_or_b64 exec, exec, s[0:1]
	v_mul_lo_u32 v4, v8, s20
	v_mul_lo_u32 v11, v7, s21
	v_mad_u64_u32 v[9:10], s[0:1], v7, s20, 0
	s_load_dwordx2 s[0:1], s[6:7], 0x0
	s_add_u32 s18, s18, 1
	v_add3_u32 v4, v10, v11, v4
	v_sub_co_u32_e32 v5, vcc, v5, v9
	v_subb_co_u32_e32 v4, vcc, v6, v4, vcc
	s_waitcnt lgkmcnt(0)
	v_mul_lo_u32 v4, s0, v4
	v_mul_lo_u32 v6, s1, v5
	v_mad_u64_u32 v[1:2], s[0:1], s0, v5, v[1:2]
	s_addc_u32 s19, s19, 0
	s_add_u32 s6, s6, 8
	v_add3_u32 v2, v6, v2, v4
	v_mov_b32_e32 v4, s10
	v_mov_b32_e32 v5, s11
	s_addc_u32 s7, s7, 0
	v_cmp_ge_u64_e32 vcc, s[18:19], v[4:5]
	s_add_u32 s16, s16, 8
	s_addc_u32 s17, s17, 0
	s_cbranch_vccnz .LBB0_9
; %bb.7:                                ;   in Loop: Header=BB0_2 Depth=1
	v_mov_b32_e32 v5, v7
	v_mov_b32_e32 v6, v8
	s_branch .LBB0_2
.LBB0_8:
	v_mov_b32_e32 v8, v6
	v_mov_b32_e32 v7, v5
.LBB0_9:
	s_lshl_b64 s[0:1], s[10:11], 3
	s_add_u32 s0, s14, s0
	s_addc_u32 s1, s15, s1
	s_load_dwordx2 s[6:7], s[0:1], 0x0
	s_load_dwordx2 s[10:11], s[4:5], 0x20
                                        ; implicit-def: $vgpr103
                                        ; implicit-def: $vgpr101
                                        ; implicit-def: $vgpr86
                                        ; implicit-def: $vgpr87
                                        ; implicit-def: $vgpr82
                                        ; implicit-def: $vgpr83
	s_waitcnt lgkmcnt(0)
	v_mad_u64_u32 v[1:2], s[0:1], s6, v7, v[1:2]
	s_mov_b32 s0, 0x4924925
	v_mul_lo_u32 v3, s6, v8
	v_mul_lo_u32 v4, s7, v7
	v_mul_hi_u32 v5, v0, s0
	v_cmp_gt_u64_e32 vcc, s[10:11], v[7:8]
	v_cmp_le_u64_e64 s[0:1], s[10:11], v[7:8]
	v_add3_u32 v2, v4, v2, v3
	v_mul_u32_u24_e32 v3, 56, v5
	v_sub_u32_e32 v100, v0, v3
	v_add_u32_e32 v102, 56, v100
	s_and_saveexec_b64 s[4:5], s[0:1]
	s_xor_b64 s[0:1], exec, s[4:5]
; %bb.10:
	v_add_u32_e32 v103, 56, v100
	v_add_u32_e32 v101, 0x70, v100
	;; [unrolled: 1-line block ×6, first 2 shown]
; %bb.11:
	s_or_saveexec_b64 s[4:5], s[0:1]
	v_lshlrev_b64 v[80:81], 4, v[1:2]
                                        ; implicit-def: $vgpr66_vgpr67
                                        ; implicit-def: $vgpr62_vgpr63
                                        ; implicit-def: $vgpr30_vgpr31
                                        ; implicit-def: $vgpr6_vgpr7
                                        ; implicit-def: $vgpr34_vgpr35
                                        ; implicit-def: $vgpr10_vgpr11
                                        ; implicit-def: $vgpr38_vgpr39
                                        ; implicit-def: $vgpr14_vgpr15
                                        ; implicit-def: $vgpr42_vgpr43
                                        ; implicit-def: $vgpr18_vgpr19
                                        ; implicit-def: $vgpr46_vgpr47
                                        ; implicit-def: $vgpr22_vgpr23
                                        ; implicit-def: $vgpr54_vgpr55
                                        ; implicit-def: $vgpr26_vgpr27
                                        ; implicit-def: $vgpr50_vgpr51
                                        ; implicit-def: $vgpr2_vgpr3
	s_xor_b64 exec, exec, s[4:5]
	s_cbranch_execz .LBB0_15
; %bb.12:
	v_mad_u64_u32 v[0:1], s[0:1], s2, v100, 0
	v_add_u32_e32 v5, 0x1a4, v100
	v_mov_b32_e32 v4, s13
	v_mad_u64_u32 v[1:2], s[0:1], s3, v100, v[1:2]
	v_mad_u64_u32 v[2:3], s[0:1], s2, v5, 0
	v_add_co_u32_e64 v56, s[0:1], s12, v80
	v_addc_co_u32_e64 v57, s[0:1], v4, v81, s[0:1]
	v_mad_u64_u32 v[3:4], s[0:1], s3, v5, v[3:4]
	v_mad_u64_u32 v[4:5], s[0:1], s2, v102, 0
	v_lshlrev_b64 v[0:1], 4, v[0:1]
	v_add_u32_e32 v101, 0x70, v100
	v_add_co_u32_e64 v58, s[0:1], v56, v0
	v_addc_co_u32_e64 v59, s[0:1], v57, v1, s[0:1]
	v_lshlrev_b64 v[0:1], 4, v[2:3]
	v_mov_b32_e32 v2, v5
	v_mad_u64_u32 v[2:3], s[0:1], s3, v102, v[2:3]
	v_add_u32_e32 v3, 0x1dc, v100
	v_mad_u64_u32 v[6:7], s[0:1], s2, v3, 0
	v_add_co_u32_e64 v60, s[0:1], v56, v0
	v_mov_b32_e32 v5, v2
	v_mov_b32_e32 v2, v7
	v_addc_co_u32_e64 v61, s[0:1], v57, v1, s[0:1]
	v_mad_u64_u32 v[2:3], s[0:1], s3, v3, v[2:3]
	v_lshlrev_b64 v[0:1], 4, v[4:5]
	v_mad_u64_u32 v[3:4], s[0:1], s2, v101, 0
	v_add_co_u32_e64 v62, s[0:1], v56, v0
	v_mov_b32_e32 v7, v2
	v_mov_b32_e32 v2, v4
	v_addc_co_u32_e64 v63, s[0:1], v57, v1, s[0:1]
	v_lshlrev_b64 v[0:1], 4, v[6:7]
	v_mad_u64_u32 v[4:5], s[0:1], s3, v101, v[2:3]
	v_add_u32_e32 v7, 0x214, v100
	v_mad_u64_u32 v[5:6], s[0:1], s2, v7, 0
	v_add_co_u32_e64 v64, s[0:1], v56, v0
	v_mov_b32_e32 v2, v6
	v_addc_co_u32_e64 v65, s[0:1], v57, v1, s[0:1]
	v_lshlrev_b64 v[0:1], 4, v[3:4]
	v_mad_u64_u32 v[2:3], s[0:1], s3, v7, v[2:3]
	v_add_u32_e32 v86, 0xa8, v100
	v_mad_u64_u32 v[3:4], s[0:1], s2, v86, 0
	v_add_co_u32_e64 v66, s[0:1], v56, v0
	v_mov_b32_e32 v6, v2
	v_mov_b32_e32 v2, v4
	v_addc_co_u32_e64 v67, s[0:1], v57, v1, s[0:1]
	v_lshlrev_b64 v[0:1], 4, v[5:6]
	v_mad_u64_u32 v[4:5], s[0:1], s3, v86, v[2:3]
	v_add_u32_e32 v7, 0x24c, v100
	v_mad_u64_u32 v[5:6], s[0:1], s2, v7, 0
	v_add_co_u32_e64 v68, s[0:1], v56, v0
	v_mov_b32_e32 v2, v6
	v_addc_co_u32_e64 v69, s[0:1], v57, v1, s[0:1]
	v_lshlrev_b64 v[0:1], 4, v[3:4]
	v_mad_u64_u32 v[2:3], s[0:1], s3, v7, v[2:3]
	v_add_u32_e32 v87, 0xe0, v100
	;; [unrolled: 15-line block ×4, first 2 shown]
	v_mad_u64_u32 v[3:4], s[0:1], s2, v83, 0
	v_add_co_u32_e64 v78, s[0:1], v56, v0
	v_mov_b32_e32 v6, v2
	v_mov_b32_e32 v2, v4
	v_addc_co_u32_e64 v79, s[0:1], v57, v1, s[0:1]
	v_lshlrev_b64 v[0:1], 4, v[5:6]
	v_mad_u64_u32 v[4:5], s[0:1], s3, v83, v[2:3]
	v_add_u32_e32 v7, 0x2f4, v100
	v_mad_u64_u32 v[5:6], s[0:1], s2, v7, 0
	v_add_co_u32_e64 v84, s[0:1], v56, v0
	v_mov_b32_e32 v2, v6
	v_addc_co_u32_e64 v85, s[0:1], v57, v1, s[0:1]
	v_lshlrev_b64 v[0:1], 4, v[3:4]
	v_mad_u64_u32 v[2:3], s[0:1], s3, v7, v[2:3]
	v_add_co_u32_e64 v88, s[0:1], v56, v0
	v_mov_b32_e32 v6, v2
	v_addc_co_u32_e64 v89, s[0:1], v57, v1, s[0:1]
	v_lshlrev_b64 v[0:1], 4, v[5:6]
	v_add_co_u32_e64 v90, s[0:1], v56, v0
	v_addc_co_u32_e64 v91, s[0:1], v57, v1, s[0:1]
	global_load_dwordx4 v[0:3], v[58:59], off
	global_load_dwordx4 v[48:51], v[60:61], off
	;; [unrolled: 1-line block ×14, first 2 shown]
	v_cmp_gt_u32_e64 s[0:1], 28, v100
                                        ; implicit-def: $vgpr60_vgpr61
                                        ; implicit-def: $vgpr64_vgpr65
	s_and_saveexec_b64 s[6:7], s[0:1]
	s_cbranch_execz .LBB0_14
; %bb.13:
	v_add_u32_e32 v62, 0x188, v100
	v_add_u32_e32 v64, 0x32c, v100
	v_mad_u64_u32 v[58:59], s[0:1], s2, v62, 0
	v_mad_u64_u32 v[60:61], s[0:1], s2, v64, 0
	v_mad_u64_u32 v[62:63], s[0:1], s3, v62, v[59:60]
	v_mov_b32_e32 v59, v62
	v_mad_u64_u32 v[61:62], s[0:1], s3, v64, v[61:62]
	v_lshlrev_b64 v[58:59], 4, v[58:59]
	v_add_co_u32_e64 v58, s[0:1], v56, v58
	v_lshlrev_b64 v[60:61], 4, v[60:61]
	v_addc_co_u32_e64 v59, s[0:1], v57, v59, s[0:1]
	v_add_co_u32_e64 v56, s[0:1], v56, v60
	v_addc_co_u32_e64 v57, s[0:1], v57, v61, s[0:1]
	global_load_dwordx4 v[60:63], v[58:59], off
	global_load_dwordx4 v[64:67], v[56:57], off
.LBB0_14:
	s_or_b64 exec, exec, s[6:7]
	v_mov_b32_e32 v103, v102
.LBB0_15:
	s_or_b64 exec, exec, s[4:5]
	s_waitcnt vmcnt(12)
	v_add_f64 v[58:59], v[0:1], -v[48:49]
	s_waitcnt vmcnt(10)
	v_add_f64 v[70:71], v[24:25], -v[52:53]
	v_lshl_add_u32 v53, v100, 4, 0
	s_waitcnt vmcnt(8)
	v_add_f64 v[74:75], v[20:21], -v[44:45]
	v_lshl_add_u32 v52, v103, 4, 0
	s_waitcnt vmcnt(6)
	v_add_f64 v[78:79], v[16:17], -v[40:41]
	s_waitcnt vmcnt(4)
	v_add_f64 v[90:91], v[12:13], -v[36:37]
	;; [unrolled: 2-line block ×3, first 2 shown]
	v_fma_f64 v[56:57], v[0:1], 2.0, -v[58:59]
	v_fma_f64 v[68:69], v[24:25], 2.0, -v[70:71]
	s_waitcnt vmcnt(0)
	v_add_f64 v[98:99], v[4:5], -v[28:29]
	v_fma_f64 v[72:73], v[20:21], 2.0, -v[74:75]
	v_lshl_add_u32 v24, v101, 4, 0
	v_fma_f64 v[76:77], v[16:17], 2.0, -v[78:79]
	v_fma_f64 v[88:89], v[12:13], 2.0, -v[90:91]
	;; [unrolled: 1-line block ×3, first 2 shown]
	ds_write_b128 v53, v[56:59]
	ds_write_b128 v52, v[68:71]
	v_add_f64 v[58:59], v[60:61], -v[64:65]
	v_fma_f64 v[96:97], v[4:5], 2.0, -v[98:99]
	v_add_u32_e32 v64, 0x188, v100
	v_lshl_add_u32 v28, v86, 4, 0
	v_lshl_add_u32 v29, v87, 4, 0
	;; [unrolled: 1-line block ×4, first 2 shown]
	v_cmp_gt_u32_e64 s[0:1], 28, v100
	v_fma_f64 v[56:57], v[60:61], 2.0, -v[58:59]
	v_lshl_add_u32 v20, v64, 4, 0
	ds_write_b128 v24, v[72:75]
	ds_write_b128 v28, v[76:79]
	;; [unrolled: 1-line block ×5, first 2 shown]
	s_and_saveexec_b64 s[4:5], s[0:1]
	s_cbranch_execz .LBB0_17
; %bb.16:
	ds_write_b128 v20, v[56:59]
.LBB0_17:
	s_or_b64 exec, exec, s[4:5]
	v_lshlrev_b32_e32 v0, 3, v100
	v_lshlrev_b32_e32 v5, 3, v101
	v_sub_u32_e32 v104, v53, v0
	v_sub_u32_e32 v1, v24, v5
	s_waitcnt lgkmcnt(0)
	; wave barrier
	s_waitcnt lgkmcnt(0)
	ds_read_b64 v[8:9], v104
	ds_read_b64 v[12:13], v1
	v_add_u32_e32 v0, 0x800, v104
	v_lshlrev_b32_e32 v4, 3, v103
	v_add_u32_e32 v1, 0x1000, v104
	v_lshlrev_b32_e32 v21, 3, v86
	v_lshlrev_b32_e32 v61, 3, v82
	;; [unrolled: 1-line block ×3, first 2 shown]
	ds_read2_b64 v[68:71], v0 offset0:164 offset1:220
	v_sub_u32_e32 v0, v52, v4
	ds_read2_b64 v[72:75], v1 offset0:20 offset1:76
	v_sub_u32_e32 v16, v28, v21
	v_lshlrev_b32_e32 v60, 3, v87
	ds_read2_b64 v[76:79], v1 offset0:132 offset1:188
	v_sub_u32_e32 v1, v32, v61
	v_sub_u32_e32 v44, v33, v88
	;; [unrolled: 1-line block ×3, first 2 shown]
	ds_read_b64 v[16:17], v16
	ds_read_b64 v[36:37], v25
	;; [unrolled: 1-line block ×5, first 2 shown]
	ds_read_b64 v[0:1], v104 offset:6048
	s_and_saveexec_b64 s[4:5], s[0:1]
	s_cbranch_execz .LBB0_19
; %bb.18:
	ds_read_b64 v[56:57], v104 offset:3136
	ds_read_b64 v[58:59], v104 offset:6496
.LBB0_19:
	s_or_b64 exec, exec, s[4:5]
	v_sub_u32_e32 v85, 0, v4
	v_sub_u32_e32 v25, 0, v5
	v_add_f64 v[90:91], v[2:3], -v[50:51]
	v_add_f64 v[4:5], v[62:63], -v[66:67]
	v_add_f64 v[94:95], v[26:27], -v[54:55]
	v_add_f64 v[98:99], v[22:23], -v[46:47]
	v_add_f64 v[107:108], v[18:19], -v[42:43]
	v_add_f64 v[111:112], v[14:15], -v[38:39]
	v_add_f64 v[115:116], v[10:11], -v[34:35]
	v_add_f64 v[119:120], v[6:7], -v[30:31]
	v_sub_u32_e32 v65, 0, v60
	v_sub_u32_e32 v60, 0, v88
	v_fma_f64 v[88:89], v[2:3], 2.0, -v[90:91]
	v_fma_f64 v[2:3], v[62:63], 2.0, -v[4:5]
	;; [unrolled: 1-line block ×8, first 2 shown]
	v_sub_u32_e32 v84, 0, v21
	v_sub_u32_e32 v61, 0, v61
	s_waitcnt lgkmcnt(0)
	; wave barrier
	s_waitcnt lgkmcnt(0)
	ds_write_b128 v53, v[88:91]
	ds_write_b128 v52, v[92:95]
	;; [unrolled: 1-line block ×7, first 2 shown]
	s_and_saveexec_b64 s[4:5], s[0:1]
	s_cbranch_execz .LBB0_21
; %bb.20:
	ds_write_b128 v20, v[2:5]
.LBB0_21:
	s_or_b64 exec, exec, s[4:5]
	v_add_u32_e32 v6, 0x800, v104
	s_waitcnt lgkmcnt(0)
	; wave barrier
	s_waitcnt lgkmcnt(0)
	ds_read2_b64 v[18:21], v6 offset0:164 offset1:220
	v_add_u32_e32 v105, v24, v25
	v_add_u32_e32 v6, 0x1000, v104
	;; [unrolled: 1-line block ×3, first 2 shown]
	ds_read_b64 v[42:43], v104
	ds_read_b64 v[46:47], v105
	v_add_u32_e32 v106, v52, v85
	ds_read2_b64 v[22:25], v6 offset0:20 offset1:76
	v_add_u32_e32 v90, v29, v65
	ds_read2_b64 v[26:29], v6 offset0:132 offset1:188
	v_add_u32_e32 v91, v32, v61
	v_add_u32_e32 v89, v33, v60
	ds_read_b64 v[50:51], v88
	ds_read_b64 v[52:53], v90
	;; [unrolled: 1-line block ×5, first 2 shown]
	ds_read_b64 v[84:85], v104 offset:6048
	v_lshlrev_b32_e32 v92, 1, v100
	v_lshlrev_b32_e32 v93, 1, v103
	;; [unrolled: 1-line block ×7, first 2 shown]
	s_and_saveexec_b64 s[4:5], s[0:1]
	s_cbranch_execz .LBB0_23
; %bb.22:
	ds_read_b64 v[2:3], v104 offset:3136
	ds_read_b64 v[4:5], v104 offset:6496
.LBB0_23:
	s_or_b64 exec, exec, s[4:5]
	v_and_b32_e32 v108, 1, v100
	v_lshlrev_b32_e32 v6, 4, v108
	global_load_dwordx4 v[30:33], v6, s[8:9]
	s_movk_i32 s4, 0x7c
	s_movk_i32 s5, 0xfc
	;; [unrolled: 1-line block ×4, first 2 shown]
	v_and_or_b32 v6, v92, s4, v108
	v_and_or_b32 v7, v93, s5, v108
	;; [unrolled: 1-line block ×3, first 2 shown]
	s_movk_i32 s10, 0x2fc
	v_and_or_b32 v10, v94, s6, v108
	v_and_or_b32 v11, v97, s6, v108
	v_lshl_add_u32 v109, v6, 3, 0
	v_lshl_add_u32 v110, v7, 3, 0
	;; [unrolled: 1-line block ×3, first 2 shown]
	v_and_or_b32 v14, v98, s7, v108
	v_and_or_b32 v15, v99, s10, v108
	v_lshl_add_u32 v111, v10, 3, 0
	v_lshl_add_u32 v112, v11, 3, 0
	;; [unrolled: 1-line block ×4, first 2 shown]
	v_lshlrev_b32_e32 v95, 1, v64
	s_waitcnt lgkmcnt(0)
	; wave barrier
	s_waitcnt vmcnt(0) lgkmcnt(0)
	v_mul_f64 v[6:7], v[18:19], v[32:33]
	v_mul_f64 v[34:35], v[24:25], v[32:33]
	;; [unrolled: 1-line block ×8, first 2 shown]
	v_fma_f64 v[6:7], v[68:69], v[30:31], v[6:7]
	v_fma_f64 v[34:35], v[74:75], v[30:31], v[34:35]
	;; [unrolled: 1-line block ×8, first 2 shown]
	v_add_f64 v[6:7], v[8:9], -v[6:7]
	v_add_f64 v[118:119], v[16:17], -v[34:35]
	;; [unrolled: 1-line block ×8, first 2 shown]
	v_fma_f64 v[8:9], v[8:9], 2.0, -v[6:7]
	v_fma_f64 v[16:17], v[16:17], 2.0, -v[118:119]
	;; [unrolled: 1-line block ×8, first 2 shown]
	ds_write2_b64 v109, v[8:9], v[6:7] offset1:2
	ds_write2_b64 v110, v[48:49], v[10:11] offset1:2
	;; [unrolled: 1-line block ×7, first 2 shown]
	s_and_saveexec_b64 s[4:5], s[0:1]
	s_cbranch_execz .LBB0_25
; %bb.24:
	s_movk_i32 s6, 0x37c
	v_and_or_b32 v6, v95, s6, v108
	v_lshl_add_u32 v6, v6, 3, 0
	ds_write2_b64 v6, v[36:37], v[34:35] offset1:2
.LBB0_25:
	s_or_b64 exec, exec, s[4:5]
	v_add_u32_e32 v6, 0x800, v104
	s_waitcnt lgkmcnt(0)
	; wave barrier
	s_waitcnt lgkmcnt(0)
	ds_read_b64 v[40:41], v104
	ds_read2_b64 v[10:13], v6 offset0:164 offset1:220
	ds_read_b64 v[44:45], v105
	v_add_u32_e32 v6, 0x1000, v104
	ds_read2_b64 v[14:17], v6 offset0:20 offset1:76
	ds_read2_b64 v[6:9], v6 offset0:132 offset1:188
	ds_read_b64 v[48:49], v88
	ds_read_b64 v[56:57], v90
	;; [unrolled: 1-line block ×5, first 2 shown]
	ds_read_b64 v[38:39], v104 offset:6048
	v_lshl_add_u32 v107, v100, 3, 0
	s_and_saveexec_b64 s[4:5], s[0:1]
	s_cbranch_execz .LBB0_27
; %bb.26:
	ds_read_b64 v[36:37], v107 offset:3136
	ds_read_b64 v[34:35], v104 offset:6496
.LBB0_27:
	s_or_b64 exec, exec, s[4:5]
	v_mul_f64 v[68:69], v[68:69], v[32:33]
	v_mul_f64 v[70:71], v[70:71], v[32:33]
	;; [unrolled: 1-line block ×8, first 2 shown]
	v_fma_f64 v[18:19], v[18:19], v[30:31], -v[68:69]
	v_fma_f64 v[20:21], v[20:21], v[30:31], -v[70:71]
	;; [unrolled: 1-line block ×8, first 2 shown]
	v_add_f64 v[18:19], v[42:43], -v[18:19]
	v_add_f64 v[20:21], v[66:67], -v[20:21]
	;; [unrolled: 1-line block ×8, first 2 shown]
	v_fma_f64 v[4:5], v[42:43], 2.0, -v[18:19]
	v_fma_f64 v[42:43], v[66:67], 2.0, -v[20:21]
	;; [unrolled: 1-line block ×8, first 2 shown]
	s_waitcnt lgkmcnt(0)
	; wave barrier
	s_waitcnt lgkmcnt(0)
	ds_write2_b64 v109, v[4:5], v[18:19] offset1:2
	ds_write2_b64 v110, v[42:43], v[20:21] offset1:2
	;; [unrolled: 1-line block ×7, first 2 shown]
	s_and_saveexec_b64 s[4:5], s[0:1]
	s_cbranch_execz .LBB0_29
; %bb.28:
	s_movk_i32 s6, 0x37c
	v_and_or_b32 v0, v95, s6, v108
	v_lshl_add_u32 v0, v0, 3, 0
	ds_write2_b64 v0, v[30:31], v[32:33] offset1:2
.LBB0_29:
	s_or_b64 exec, exec, s[4:5]
	v_add_u32_e32 v0, 0x800, v104
	s_waitcnt lgkmcnt(0)
	; wave barrier
	s_waitcnt lgkmcnt(0)
	ds_read_b64 v[42:43], v104
	ds_read2_b64 v[2:5], v0 offset0:164 offset1:220
	ds_read_b64 v[46:47], v105
	v_add_u32_e32 v0, 0x1000, v104
	ds_read2_b64 v[18:21], v0 offset0:20 offset1:76
	ds_read2_b64 v[22:25], v0 offset0:132 offset1:188
	ds_read_b64 v[50:51], v88
	ds_read_b64 v[52:53], v90
	;; [unrolled: 1-line block ×5, first 2 shown]
	ds_read_b64 v[66:67], v104 offset:6048
	s_and_saveexec_b64 s[4:5], s[0:1]
	s_cbranch_execz .LBB0_31
; %bb.30:
	ds_read_b64 v[30:31], v107 offset:3136
	ds_read_b64 v[32:33], v104 offset:6496
.LBB0_31:
	s_or_b64 exec, exec, s[4:5]
	v_and_b32_e32 v68, 3, v100
	v_lshlrev_b32_e32 v0, 4, v68
	global_load_dwordx4 v[26:29], v0, s[8:9] offset:32
	s_movk_i32 s4, 0x78
	s_movk_i32 s5, 0xf8
	v_and_or_b32 v0, v92, s4, v68
	v_and_or_b32 v1, v93, s5, v68
	v_lshl_add_u32 v69, v0, 3, 0
	v_lshl_add_u32 v70, v1, 3, 0
	s_movk_i32 s6, 0x1f8
	s_movk_i32 s7, 0x3f8
	;; [unrolled: 1-line block ×3, first 2 shown]
	v_and_or_b32 v72, v97, s6, v68
	v_and_or_b32 v75, v96, s7, v68
	;; [unrolled: 1-line block ×5, first 2 shown]
	v_lshl_add_u32 v71, v71, 3, 0
	v_lshl_add_u32 v72, v72, 3, 0
	;; [unrolled: 1-line block ×5, first 2 shown]
	s_waitcnt lgkmcnt(0)
	; wave barrier
	s_waitcnt vmcnt(0) lgkmcnt(0)
	v_mul_f64 v[0:1], v[2:3], v[28:29]
	v_mul_f64 v[76:77], v[4:5], v[28:29]
	;; [unrolled: 1-line block ×8, first 2 shown]
	v_fma_f64 v[0:1], v[10:11], v[26:27], v[0:1]
	v_fma_f64 v[76:77], v[12:13], v[26:27], v[76:77]
	;; [unrolled: 1-line block ×7, first 2 shown]
	v_add_f64 v[110:111], v[40:41], -v[0:1]
	v_fma_f64 v[0:1], v[34:35], v[26:27], v[108:109]
	v_add_f64 v[76:77], v[82:83], -v[76:77]
	v_add_f64 v[78:79], v[44:45], -v[78:79]
	;; [unrolled: 1-line block ×6, first 2 shown]
	v_fma_f64 v[40:41], v[40:41], 2.0, -v[110:111]
	v_add_f64 v[0:1], v[36:37], -v[0:1]
	v_fma_f64 v[82:83], v[82:83], 2.0, -v[76:77]
	v_fma_f64 v[44:45], v[44:45], 2.0, -v[78:79]
	;; [unrolled: 1-line block ×6, first 2 shown]
	ds_write2_b64 v69, v[40:41], v[110:111] offset1:4
	ds_write2_b64 v70, v[82:83], v[76:77] offset1:4
	;; [unrolled: 1-line block ×7, first 2 shown]
	s_and_saveexec_b64 s[4:5], s[0:1]
	s_cbranch_execz .LBB0_33
; %bb.32:
	v_fma_f64 v[36:37], v[36:37], 2.0, -v[0:1]
	s_movk_i32 s6, 0x378
	v_and_or_b32 v40, v95, s6, v68
	v_lshl_add_u32 v40, v40, 3, 0
	ds_write2_b64 v40, v[36:37], v[0:1] offset1:4
.LBB0_33:
	s_or_b64 exec, exec, s[4:5]
	v_mul_f64 v[10:11], v[10:11], v[28:29]
	v_mul_f64 v[12:13], v[12:13], v[28:29]
	;; [unrolled: 1-line block ×7, first 2 shown]
	s_waitcnt lgkmcnt(0)
	v_fma_f64 v[2:3], v[2:3], v[26:27], -v[10:11]
	v_fma_f64 v[4:5], v[4:5], v[26:27], -v[12:13]
	;; [unrolled: 1-line block ×3, first 2 shown]
	v_mul_f64 v[16:17], v[34:35], v[28:29]
	v_fma_f64 v[10:11], v[18:19], v[26:27], -v[14:15]
	v_fma_f64 v[6:7], v[22:23], v[26:27], -v[6:7]
	;; [unrolled: 1-line block ×4, first 2 shown]
	v_add_f64 v[38:39], v[42:43], -v[2:3]
	v_add_f64 v[40:41], v[60:61], -v[4:5]
	;; [unrolled: 1-line block ×3, first 2 shown]
	v_fma_f64 v[2:3], v[32:33], v[26:27], -v[16:17]
	v_add_f64 v[44:45], v[46:47], -v[10:11]
	v_add_u32_e32 v36, 0x1000, v104
	v_add_u32_e32 v37, 0x800, v104
	v_add_f64 v[56:57], v[52:53], -v[6:7]
	v_add_f64 v[62:63], v[54:55], -v[8:9]
	;; [unrolled: 1-line block ×3, first 2 shown]
	; wave barrier
	v_add_f64 v[4:5], v[30:31], -v[2:3]
	ds_read_b64 v[26:27], v104
	ds_read2_b64 v[14:17], v36 offset0:48 offset1:104
	ds_read2_b64 v[18:21], v37 offset0:80 offset1:136
	ds_read_b64 v[24:25], v105
	ds_read2_b64 v[10:13], v36 offset0:160 offset1:216
	ds_read_b64 v[22:23], v88
	;; [unrolled: 2-line block ×3, first 2 shown]
	ds_read_b64 v[2:3], v90
	ds_read_b64 v[28:29], v106
	ds_read_b64 v[32:33], v104 offset:6272
	v_fma_f64 v[42:43], v[42:43], 2.0, -v[38:39]
	v_fma_f64 v[60:61], v[60:61], 2.0, -v[40:41]
	v_fma_f64 v[46:47], v[46:47], 2.0, -v[44:45]
	v_fma_f64 v[50:51], v[50:51], 2.0, -v[48:49]
	v_fma_f64 v[52:53], v[52:53], 2.0, -v[56:57]
	v_fma_f64 v[54:55], v[54:55], 2.0, -v[62:63]
	v_fma_f64 v[58:59], v[58:59], 2.0, -v[64:65]
	s_waitcnt lgkmcnt(0)
	; wave barrier
	s_waitcnt lgkmcnt(0)
	ds_write2_b64 v69, v[42:43], v[38:39] offset1:4
	ds_write2_b64 v70, v[60:61], v[40:41] offset1:4
	;; [unrolled: 1-line block ×7, first 2 shown]
	s_and_saveexec_b64 s[4:5], s[0:1]
	s_cbranch_execz .LBB0_35
; %bb.34:
	v_fma_f64 v[30:31], v[30:31], 2.0, -v[4:5]
	s_movk_i32 s0, 0x378
	v_and_or_b32 v38, v95, s0, v68
	v_lshl_add_u32 v38, v38, 3, 0
	ds_write2_b64 v38, v[30:31], v[4:5] offset1:4
.LBB0_35:
	s_or_b64 exec, exec, s[4:5]
	v_and_b32_e32 v124, 7, v100
	v_lshlrev_b32_e32 v30, 5, v124
	s_waitcnt lgkmcnt(0)
	; wave barrier
	s_waitcnt lgkmcnt(0)
	global_load_dwordx4 v[38:41], v30, s[8:9] offset:96
	global_load_dwordx4 v[42:45], v30, s[8:9] offset:112
	ds_read_b64 v[30:31], v104
	ds_read2_b64 v[46:49], v36 offset0:48 offset1:104
	ds_read2_b64 v[50:53], v37 offset0:80 offset1:136
	;; [unrolled: 1-line block ×3, first 2 shown]
	ds_read_b64 v[62:63], v88
	ds_read2_b64 v[58:61], v37 offset0:192 offset1:248
	ds_read_b64 v[64:65], v91
	ds_read_b64 v[66:67], v90
	;; [unrolled: 1-line block ×4, first 2 shown]
	ds_read_b64 v[72:73], v104 offset:6272
	s_mov_b32 s0, 0xe8584caa
	s_mov_b32 s1, 0xbfebb67a
	;; [unrolled: 1-line block ×4, first 2 shown]
	s_waitcnt lgkmcnt(0)
	; wave barrier
	s_waitcnt lgkmcnt(0)
	s_mov_b32 s6, 0x4755a5e
	s_mov_b32 s7, 0xbfe2cf23
	;; [unrolled: 1-line block ×7, first 2 shown]
	s_waitcnt vmcnt(1)
	v_mul_f64 v[74:75], v[64:65], v[40:41]
	s_waitcnt vmcnt(0)
	v_mul_f64 v[78:79], v[46:47], v[44:45]
	v_mul_f64 v[76:77], v[34:35], v[40:41]
	;; [unrolled: 1-line block ×19, first 2 shown]
	v_fma_f64 v[34:35], v[34:35], v[38:39], v[74:75]
	v_fma_f64 v[14:15], v[14:15], v[42:43], v[78:79]
	v_fma_f64 v[64:65], v[64:65], v[38:39], -v[76:77]
	v_fma_f64 v[50:51], v[50:51], v[38:39], -v[90:91]
	;; [unrolled: 1-line block ×8, first 2 shown]
	v_fma_f64 v[18:19], v[18:19], v[38:39], v[84:85]
	v_fma_f64 v[16:17], v[16:17], v[42:43], v[92:93]
	;; [unrolled: 1-line block ×6, first 2 shown]
	v_fma_f64 v[38:39], v[60:61], v[38:39], -v[40:41]
	v_fma_f64 v[32:33], v[32:33], v[42:43], v[122:123]
	v_fma_f64 v[40:41], v[72:73], v[42:43], -v[44:45]
	v_add_f64 v[44:45], v[34:35], v[14:15]
	v_fma_f64 v[12:13], v[12:13], v[42:43], v[116:117]
	v_add_f64 v[42:43], v[26:27], v[34:35]
	v_add_f64 v[72:73], v[30:31], v[64:65]
	v_add_f64 v[78:79], v[50:51], -v[48:49]
	v_add_f64 v[82:83], v[70:71], v[50:51]
	v_add_f64 v[50:51], v[50:51], v[48:49]
	v_add_f64 v[92:93], v[52:53], -v[54:55]
	;; [unrolled: 3-line block ×4, first 2 shown]
	v_add_f64 v[64:65], v[64:65], v[46:47]
	v_add_f64 v[76:77], v[18:19], v[16:17]
	;; [unrolled: 1-line block ×6, first 2 shown]
	v_fma_f64 v[26:27], v[44:45], -0.5, v[26:27]
	v_add_f64 v[34:35], v[34:35], -v[14:15]
	v_add_f64 v[98:99], v[6:7], v[12:13]
	v_add_f64 v[14:15], v[42:43], v[14:15]
	;; [unrolled: 1-line block ×4, first 2 shown]
	v_fma_f64 v[46:47], v[50:51], -0.5, v[70:71]
	v_add_f64 v[48:49], v[94:95], v[54:55]
	v_fma_f64 v[50:51], v[52:53], -0.5, v[68:69]
	v_fma_f64 v[54:55], v[58:59], -0.5, v[62:63]
	v_add_f64 v[6:7], v[6:7], -v[12:13]
	v_add_f64 v[68:69], v[38:39], -v[40:41]
	v_add_f64 v[38:39], v[66:67], v[38:39]
	v_add_f64 v[74:75], v[28:29], v[18:19]
	v_fma_f64 v[30:31], v[64:65], -0.5, v[30:31]
	v_fma_f64 v[28:29], v[76:77], -0.5, v[28:29]
	v_add_f64 v[84:85], v[24:25], v[20:21]
	v_fma_f64 v[24:25], v[90:91], -0.5, v[24:25]
	v_add_f64 v[52:53], v[96:97], v[12:13]
	v_add_f64 v[12:13], v[2:3], v[8:9]
	v_fma_f64 v[2:3], v[112:113], -0.5, v[2:3]
	v_fma_f64 v[66:67], v[114:115], -0.5, v[66:67]
	v_add_f64 v[8:9], v[8:9], -v[32:33]
	v_fma_f64 v[58:59], v[60:61], s[0:1], v[26:27]
	v_fma_f64 v[26:27], v[60:61], s[4:5], v[26:27]
	;; [unrolled: 1-line block ×4, first 2 shown]
	v_add_f64 v[54:55], v[38:39], v[40:41]
	v_lshrrev_b32_e32 v38, 3, v100
	v_add_f64 v[18:19], v[18:19], -v[16:17]
	v_add_f64 v[20:21], v[20:21], -v[10:11]
	v_fma_f64 v[22:23], v[98:99], -0.5, v[22:23]
	v_mul_u32_u24_e32 v38, 24, v38
	v_add_f64 v[16:17], v[74:75], v[16:17]
	v_fma_f64 v[60:61], v[34:35], s[4:5], v[30:31]
	v_fma_f64 v[62:63], v[34:35], s[0:1], v[30:31]
	v_fma_f64 v[30:31], v[78:79], s[0:1], v[28:29]
	v_or_b32_e32 v38, v38, v124
	v_add_f64 v[10:11], v[84:85], v[10:11]
	v_fma_f64 v[28:29], v[78:79], s[4:5], v[28:29]
	v_fma_f64 v[34:35], v[92:93], s[0:1], v[24:25]
	v_add_f64 v[12:13], v[12:13], v[32:33]
	v_fma_f64 v[32:33], v[68:69], s[0:1], v[2:3]
	v_fma_f64 v[2:3], v[68:69], s[4:5], v[2:3]
	;; [unrolled: 1-line block ×4, first 2 shown]
	v_lshrrev_b32_e32 v39, 3, v103
	v_lshl_add_u32 v66, v38, 3, 0
	v_fma_f64 v[24:25], v[92:93], s[4:5], v[24:25]
	v_mul_lo_u32 v39, v39, 24
	ds_write2_b64 v66, v[14:15], v[58:59] offset1:8
	ds_write_b64 v66, v[26:27] offset:128
	v_lshrrev_b32_e32 v15, 3, v101
	v_mul_lo_u32 v15, v15, 24
	v_or_b32_e32 v14, v39, v124
	v_fma_f64 v[64:65], v[18:19], s[4:5], v[46:47]
	v_fma_f64 v[18:19], v[18:19], s[0:1], v[46:47]
	;; [unrolled: 1-line block ×5, first 2 shown]
	v_lshl_add_u32 v58, v14, 3, 0
	v_or_b32_e32 v14, v15, v124
	v_fma_f64 v[22:23], v[108:109], s[4:5], v[22:23]
	ds_write2_b64 v58, v[16:17], v[30:31] offset1:8
	ds_write_b64 v58, v[28:29] offset:128
	v_lshrrev_b32_e32 v15, 3, v86
	v_lshl_add_u32 v16, v14, 3, 0
	v_mul_lo_u32 v15, v15, 24
	ds_write2_b64 v16, v[10:11], v[34:35] offset1:8
	ds_write_b64 v16, v[24:25] offset:128
	v_lshrrev_b32_e32 v11, 3, v87
	v_mul_lo_u32 v11, v11, 24
	v_or_b32_e32 v10, v15, v124
	v_add_f64 v[56:57], v[110:111], v[56:57]
	v_lshl_add_u32 v17, v10, 3, 0
	v_or_b32_e32 v10, v11, v124
	ds_write2_b64 v17, v[52:53], v[50:51] offset1:8
	ds_write_b64 v17, v[22:23] offset:128
	v_lshl_add_u32 v22, v10, 3, 0
	s_movk_i32 s0, 0xab
	ds_write2_b64 v22, v[12:13], v[32:33] offset1:8
	ds_write_b64 v22, v[2:3] offset:128
	s_waitcnt lgkmcnt(0)
	; wave barrier
	s_waitcnt lgkmcnt(0)
	ds_read2_b64 v[10:13], v104 offset1:224
	ds_read_b64 v[2:3], v89
	ds_read2_b64 v[24:27], v37 offset0:192 offset1:248
	ds_read2_b64 v[28:31], v36 offset0:160 offset1:216
	;; [unrolled: 1-line block ×4, first 2 shown]
	ds_read_b64 v[14:15], v88
	ds_read_b64 v[78:79], v105
	ds_read_b64 v[128:129], v106
	ds_read_b64 v[130:131], v104 offset:6272
	s_waitcnt lgkmcnt(0)
	; wave barrier
	s_waitcnt lgkmcnt(0)
	ds_write2_b64 v66, v[42:43], v[60:61] offset1:8
	ds_write_b64 v66, v[62:63] offset:128
	ds_write2_b64 v58, v[44:45], v[64:65] offset1:8
	ds_write_b64 v58, v[18:19] offset:128
	;; [unrolled: 2-line block ×5, first 2 shown]
	v_mul_lo_u16_sdwa v6, v100, s0 dst_sel:DWORD dst_unused:UNUSED_PAD src0_sel:BYTE_0 src1_sel:DWORD
	v_lshrrev_b16_e32 v132, 12, v6
	v_mul_lo_u16_e32 v6, 24, v132
	v_sub_u16_e32 v133, v100, v6
	v_mov_b32_e32 v6, 6
	v_lshlrev_b32_sdwa v7, v6, v133 dst_sel:DWORD dst_unused:UNUSED_PAD src0_sel:DWORD src1_sel:BYTE_0
	s_waitcnt lgkmcnt(0)
	; wave barrier
	s_waitcnt lgkmcnt(0)
	global_load_dwordx4 v[18:21], v7, s[8:9] offset:352
	global_load_dwordx4 v[42:45], v7, s[8:9] offset:368
	;; [unrolled: 1-line block ×4, first 2 shown]
	v_mul_lo_u16_sdwa v7, v103, s0 dst_sel:DWORD dst_unused:UNUSED_PAD src0_sel:BYTE_0 src1_sel:DWORD
	v_lshrrev_b16_e32 v134, 12, v7
	v_mul_lo_u16_e32 v7, 24, v134
	v_sub_u16_e32 v135, v103, v7
	v_lshlrev_b32_sdwa v7, v6, v135 dst_sel:DWORD dst_unused:UNUSED_PAD src0_sel:DWORD src1_sel:BYTE_0
	global_load_dwordx4 v[54:57], v7, s[8:9] offset:352
	global_load_dwordx4 v[58:61], v7, s[8:9] offset:368
	;; [unrolled: 1-line block ×4, first 2 shown]
	v_mul_lo_u16_sdwa v7, v101, s0 dst_sel:DWORD dst_unused:UNUSED_PAD src0_sel:BYTE_0 src1_sel:DWORD
	v_lshrrev_b16_e32 v136, 12, v7
	v_mul_lo_u16_e32 v7, 24, v136
	v_sub_u16_e32 v137, v101, v7
	v_lshlrev_b32_sdwa v6, v6, v137 dst_sel:DWORD dst_unused:UNUSED_PAD src0_sel:DWORD src1_sel:BYTE_0
	global_load_dwordx4 v[108:111], v6, s[8:9] offset:352
	global_load_dwordx4 v[112:115], v6, s[8:9] offset:368
	;; [unrolled: 1-line block ×4, first 2 shown]
	ds_read_b64 v[22:23], v88
	ds_read_b64 v[64:65], v89
	;; [unrolled: 1-line block ×3, first 2 shown]
	ds_read2_b64 v[6:9], v104 offset1:224
	ds_read2_b64 v[82:85], v37 offset0:192 offset1:248
	ds_read2_b64 v[86:89], v36 offset0:160 offset1:216
	;; [unrolled: 1-line block ×3, first 2 shown]
	s_mov_b32 s4, 0x134454ff
	s_mov_b32 s5, 0xbfee6f0e
	;; [unrolled: 1-line block ×3, first 2 shown]
	v_cmp_gt_u32_e64 s[0:1], 8, v100
	s_waitcnt vmcnt(11) lgkmcnt(6)
	v_mul_f64 v[62:63], v[22:23], v[20:21]
	v_mul_f64 v[20:21], v[14:15], v[20:21]
	s_waitcnt vmcnt(10) lgkmcnt(5)
	v_mul_f64 v[70:71], v[64:65], v[44:45]
	v_fma_f64 v[90:91], v[14:15], v[18:19], v[62:63]
	v_fma_f64 v[62:63], v[22:23], v[18:19], -v[20:21]
	v_mul_f64 v[14:15], v[2:3], v[44:45]
	v_fma_f64 v[92:93], v[2:3], v[42:43], v[70:71]
	s_waitcnt vmcnt(8) lgkmcnt(2)
	v_mul_f64 v[2:3], v[84:85], v[52:53]
	v_mul_f64 v[18:19], v[26:27], v[52:53]
	s_waitcnt lgkmcnt(1)
	v_mul_f64 v[20:21], v[86:87], v[48:49]
	s_waitcnt vmcnt(7)
	v_mul_f64 v[52:53], v[12:13], v[56:57]
	v_mul_f64 v[22:23], v[28:29], v[48:49]
	v_mul_f64 v[48:49], v[8:9], v[56:57]
	v_fma_f64 v[76:77], v[64:65], v[42:43], -v[14:15]
	s_waitcnt vmcnt(5)
	v_mul_f64 v[14:15], v[38:39], v[68:69]
	v_fma_f64 v[94:95], v[26:27], v[50:51], v[2:3]
	s_waitcnt lgkmcnt(0)
	v_mul_f64 v[2:3], v[126:127], v[60:61]
	v_fma_f64 v[96:97], v[28:29], v[46:47], v[20:21]
	v_fma_f64 v[20:21], v[8:9], v[54:55], -v[52:53]
	v_mul_f64 v[8:9], v[34:35], v[60:61]
	ds_read2_b64 v[42:45], v36 offset0:48 offset1:104
	v_fma_f64 v[70:71], v[84:85], v[50:51], -v[18:19]
	v_fma_f64 v[64:65], v[86:87], v[46:47], -v[22:23]
	s_waitcnt vmcnt(4)
	v_mul_f64 v[26:27], v[88:89], v[74:75]
	v_mul_f64 v[28:29], v[30:31], v[74:75]
	v_fma_f64 v[74:75], v[34:35], v[58:59], v[2:3]
	s_waitcnt lgkmcnt(0)
	v_fma_f64 v[18:19], v[42:43], v[66:67], -v[14:15]
	v_fma_f64 v[22:23], v[126:127], v[58:59], -v[8:9]
	s_waitcnt vmcnt(3)
	v_mul_f64 v[2:3], v[124:125], v[110:111]
	v_mul_f64 v[8:9], v[32:33], v[110:111]
	v_add_f64 v[14:15], v[10:11], v[90:91]
	v_fma_f64 v[84:85], v[12:13], v[54:55], v[48:49]
	v_mul_f64 v[12:13], v[42:43], v[68:69]
	ds_read_b64 v[50:51], v106
	ds_read_b64 v[36:37], v104 offset:6272
	v_fma_f64 v[48:49], v[88:89], v[72:73], -v[28:29]
	v_add_f64 v[28:29], v[92:93], v[94:95]
	v_fma_f64 v[58:59], v[32:33], v[108:109], v[2:3]
	s_waitcnt vmcnt(1)
	v_mul_f64 v[2:3], v[44:45], v[118:119]
	v_fma_f64 v[52:53], v[124:125], v[108:109], -v[8:9]
	v_add_f64 v[8:9], v[14:15], v[92:93]
	v_fma_f64 v[86:87], v[38:39], v[66:67], v[12:13]
	v_mul_f64 v[12:13], v[82:83], v[114:115]
	v_fma_f64 v[98:99], v[30:31], v[72:73], v[26:27]
	v_mul_f64 v[26:27], v[24:25], v[114:115]
	v_mul_f64 v[30:31], v[40:41], v[118:119]
	v_fma_f64 v[68:69], v[40:41], v[116:117], v[2:3]
	s_waitcnt vmcnt(0) lgkmcnt(0)
	v_mul_f64 v[2:3], v[36:37], v[122:123]
	v_add_f64 v[8:9], v[8:9], v[94:95]
	v_add_f64 v[14:15], v[62:63], -v[64:65]
	v_fma_f64 v[66:67], v[24:25], v[112:113], v[12:13]
	v_fma_f64 v[12:13], v[28:29], -0.5, v[10:11]
	v_fma_f64 v[56:57], v[82:83], v[112:113], -v[26:27]
	v_fma_f64 v[54:55], v[44:45], v[116:117], -v[30:31]
	v_mul_f64 v[24:25], v[130:131], v[122:123]
	v_fma_f64 v[88:89], v[130:131], v[120:121], v[2:3]
	v_add_f64 v[2:3], v[8:9], v[96:97]
	v_add_f64 v[8:9], v[90:91], v[96:97]
	v_add_f64 v[28:29], v[76:77], -v[70:71]
	v_fma_f64 v[26:27], v[14:15], s[4:5], v[12:13]
	v_add_f64 v[30:31], v[90:91], -v[92:93]
	v_add_f64 v[32:33], v[96:97], -v[94:95]
	v_fma_f64 v[60:61], v[36:37], v[120:121], -v[24:25]
	v_add_f64 v[36:37], v[92:93], -v[90:91]
	v_add_f64 v[38:39], v[94:95], -v[96:97]
	v_fma_f64 v[8:9], v[8:9], -0.5, v[10:11]
	v_fma_f64 v[10:11], v[14:15], s[14:15], v[12:13]
	v_fma_f64 v[24:25], v[28:29], s[6:7], v[26:27]
	v_add_f64 v[44:45], v[84:85], -v[74:75]
	v_add_f64 v[26:27], v[30:31], v[32:33]
	v_add_f64 v[30:31], v[74:75], v[86:87]
	v_add_f64 v[32:33], v[20:21], -v[48:49]
	v_add_f64 v[36:37], v[36:37], v[38:39]
	v_fma_f64 v[34:35], v[28:29], s[14:15], v[8:9]
	v_fma_f64 v[10:11], v[28:29], s[16:17], v[10:11]
	v_add_f64 v[46:47], v[98:99], -v[86:87]
	v_fma_f64 v[8:9], v[28:29], s[4:5], v[8:9]
	v_add_f64 v[42:43], v[22:23], -v[18:19]
	v_fma_f64 v[30:31], v[30:31], -0.5, v[128:129]
	v_add_f64 v[28:29], v[84:85], v[98:99]
	v_fma_f64 v[24:25], v[26:27], s[10:11], v[24:25]
	v_fma_f64 v[34:35], v[14:15], s[6:7], v[34:35]
	;; [unrolled: 1-line block ×3, first 2 shown]
	v_add_f64 v[38:39], v[44:45], v[46:47]
	v_add_f64 v[44:45], v[58:59], v[88:89]
	;; [unrolled: 1-line block ×3, first 2 shown]
	v_fma_f64 v[40:41], v[32:33], s[4:5], v[30:31]
	v_fma_f64 v[8:9], v[14:15], s[16:17], v[8:9]
	v_fma_f64 v[28:29], v[28:29], -0.5, v[128:129]
	v_fma_f64 v[26:27], v[36:37], s[10:11], v[34:35]
	v_add_f64 v[34:35], v[66:67], v[68:69]
	v_fma_f64 v[30:31], v[32:33], s[14:15], v[30:31]
	v_add_f64 v[46:47], v[86:87], -v[98:99]
	v_add_f64 v[72:73], v[78:79], v[58:59]
	v_fma_f64 v[14:15], v[42:43], s[6:7], v[40:41]
	v_add_f64 v[40:41], v[74:75], -v[84:85]
	v_add_f64 v[82:83], v[52:53], -v[60:61]
	;; [unrolled: 1-line block ×3, first 2 shown]
	v_fma_f64 v[34:35], v[34:35], -0.5, v[78:79]
	v_fma_f64 v[44:45], v[44:45], -0.5, v[78:79]
	v_add_f64 v[12:13], v[12:13], v[74:75]
	v_fma_f64 v[8:9], v[36:37], s[10:11], v[8:9]
	v_fma_f64 v[36:37], v[42:43], s[14:15], v[28:29]
	;; [unrolled: 1-line block ×3, first 2 shown]
	v_add_f64 v[40:41], v[40:41], v[46:47]
	v_fma_f64 v[28:29], v[42:43], s[4:5], v[28:29]
	v_add_f64 v[42:43], v[72:73], v[66:67]
	v_fma_f64 v[46:47], v[82:83], s[4:5], v[34:35]
	v_add_f64 v[72:73], v[58:59], -v[66:67]
	v_add_f64 v[78:79], v[88:89], -v[68:69]
	v_fma_f64 v[34:35], v[82:83], s[14:15], v[34:35]
	v_fma_f64 v[110:111], v[108:109], s[14:15], v[44:45]
	v_add_f64 v[112:113], v[66:67], -v[58:59]
	v_add_f64 v[114:115], v[68:69], -v[88:89]
	v_fma_f64 v[44:45], v[108:109], s[4:5], v[44:45]
	v_add_f64 v[12:13], v[12:13], v[86:87]
	v_fma_f64 v[36:37], v[32:33], s[6:7], v[36:37]
	v_fma_f64 v[28:29], v[32:33], s[16:17], v[28:29]
	v_add_f64 v[32:33], v[42:43], v[68:69]
	v_fma_f64 v[42:43], v[108:109], s[6:7], v[46:47]
	v_add_f64 v[46:47], v[72:73], v[78:79]
	v_fma_f64 v[34:35], v[108:109], s[16:17], v[34:35]
	v_fma_f64 v[78:79], v[82:83], s[6:7], v[110:111]
	v_add_f64 v[108:109], v[112:113], v[114:115]
	;; [unrolled: 5-line block ×3, first 2 shown]
	v_fma_f64 v[38:39], v[46:47], s[10:11], v[42:43]
	v_fma_f64 v[36:37], v[40:41], s[10:11], v[36:37]
	;; [unrolled: 1-line block ×6, first 2 shown]
	v_mov_b32_e32 v43, 3
	v_mul_u32_u24_e32 v42, 0x3c0, v132
	v_lshlrev_b32_sdwa v44, v43, v133 dst_sel:DWORD dst_unused:UNUSED_PAD src0_sel:DWORD src1_sel:BYTE_0
	v_add3_u32 v108, 0, v42, v44
	s_waitcnt lgkmcnt(0)
	; wave barrier
	ds_write2_b64 v108, v[2:3], v[24:25] offset1:24
	ds_write2_b64 v108, v[26:27], v[8:9] offset0:48 offset1:72
	ds_write_b64 v108, v[10:11] offset:768
	v_mul_u32_u24_e32 v2, 0x3c0, v134
	v_lshlrev_b32_sdwa v3, v43, v135 dst_sel:DWORD dst_unused:UNUSED_PAD src0_sel:DWORD src1_sel:BYTE_0
	v_add3_u32 v109, 0, v2, v3
	v_mul_u32_u24_e32 v2, 0x3c0, v136
	v_lshlrev_b32_sdwa v3, v43, v137 dst_sel:DWORD dst_unused:UNUSED_PAD src0_sel:DWORD src1_sel:BYTE_0
	v_add3_u32 v110, 0, v2, v3
	v_add_u32_e32 v111, 0x140, v104
	v_add_u32_e32 v112, 0x100, v104
	;; [unrolled: 1-line block ×4, first 2 shown]
	ds_write2_b64 v109, v[12:13], v[14:15] offset1:24
	ds_write2_b64 v109, v[36:37], v[28:29] offset0:48 offset1:72
	ds_write_b64 v109, v[30:31] offset:768
	ds_write2_b64 v110, v[32:33], v[38:39] offset1:24
	ds_write2_b64 v110, v[34:35], v[40:41] offset0:48 offset1:72
	ds_write_b64 v110, v[72:73] offset:768
	s_waitcnt lgkmcnt(0)
	; wave barrier
	s_waitcnt lgkmcnt(0)
	ds_read2_b64 v[24:27], v104 offset1:120
	ds_read2_b64 v[40:43], v104 offset0:176 offset1:240
	ds_read2st64_b64 v[28:31], v111 offset0:4 offset1:5
	ds_read2st64_b64 v[32:35], v112 offset0:6 offset1:7
	ds_read2st64_b64 v[44:47], v113 offset0:8 offset1:9
	ds_read2st64_b64 v[36:39], v114 offset0:10 offset1:11
	ds_read_b64 v[78:79], v106
	ds_read_b64 v[82:83], v104 offset:6208
                                        ; implicit-def: $vgpr14_vgpr15
                                        ; implicit-def: $vgpr10_vgpr11
	s_and_saveexec_b64 s[18:19], s[0:1]
	s_cbranch_execz .LBB0_37
; %bb.36:
	v_add_u32_e32 v0, 0x400, v107
	v_add_u32_e32 v8, 0xc00, v107
	;; [unrolled: 1-line block ×3, first 2 shown]
	ds_read_b64 v[72:73], v105
	ds_read2_b64 v[0:3], v0 offset0:104 offset1:224
	ds_read2_b64 v[8:11], v8 offset0:88 offset1:208
	;; [unrolled: 1-line block ×3, first 2 shown]
.LBB0_37:
	s_or_b64 exec, exec, s[18:19]
	v_add_f64 v[115:116], v[6:7], v[62:63]
	v_add_f64 v[117:118], v[76:77], v[70:71]
	v_add_f64 v[90:91], v[90:91], -v[96:97]
	v_add_f64 v[96:97], v[62:63], v[64:65]
	v_add_f64 v[92:93], v[92:93], -v[94:95]
	v_add_f64 v[94:95], v[62:63], -v[76:77]
	;; [unrolled: 1-line block ×4, first 2 shown]
	v_add_f64 v[115:116], v[115:116], v[76:77]
	v_fma_f64 v[117:118], v[117:118], -0.5, v[6:7]
	v_add_f64 v[76:77], v[50:51], v[20:21]
	v_fma_f64 v[6:7], v[96:97], -0.5, v[6:7]
	v_add_f64 v[123:124], v[70:71], -v[64:65]
	v_add_f64 v[121:122], v[22:23], v[18:19]
	v_add_f64 v[84:85], v[84:85], -v[98:99]
	v_add_f64 v[94:95], v[94:95], v[119:120]
	v_add_f64 v[70:71], v[115:116], v[70:71]
	v_fma_f64 v[96:97], v[90:91], s[14:15], v[117:118]
	v_add_f64 v[76:77], v[76:77], v[22:23]
	v_fma_f64 v[115:116], v[90:91], s[4:5], v[117:118]
	v_fma_f64 v[117:118], v[92:93], s[4:5], v[6:7]
	;; [unrolled: 1-line block ×3, first 2 shown]
	v_add_f64 v[62:63], v[62:63], v[123:124]
	v_fma_f64 v[98:99], v[121:122], -0.5, v[50:51]
	v_add_f64 v[64:65], v[70:71], v[64:65]
	v_fma_f64 v[70:71], v[92:93], s[16:17], v[96:97]
	v_add_f64 v[76:77], v[76:77], v[18:19]
	v_fma_f64 v[92:93], v[92:93], s[6:7], v[115:116]
	v_fma_f64 v[117:118], v[90:91], s[16:17], v[117:118]
	;; [unrolled: 1-line block ×3, first 2 shown]
	v_add_f64 v[115:116], v[20:21], v[48:49]
	v_fma_f64 v[96:97], v[84:85], s[14:15], v[98:99]
	v_add_f64 v[74:75], v[74:75], -v[86:87]
	v_fma_f64 v[70:71], v[94:95], s[10:11], v[70:71]
	v_add_f64 v[86:87], v[20:21], -v[22:23]
	v_fma_f64 v[92:93], v[94:95], s[10:11], v[92:93]
	v_fma_f64 v[94:95], v[62:63], s[10:11], v[117:118]
	;; [unrolled: 1-line block ×3, first 2 shown]
	v_add_f64 v[62:63], v[76:77], v[48:49]
	v_add_f64 v[76:77], v[56:57], v[54:55]
	v_add_f64 v[20:21], v[22:23], -v[20:21]
	v_add_f64 v[22:23], v[52:53], v[60:61]
	v_add_f64 v[119:120], v[48:49], -v[18:19]
	v_fma_f64 v[50:51], v[115:116], -0.5, v[50:51]
	v_add_f64 v[18:19], v[18:19], -v[48:49]
	v_add_f64 v[48:49], v[16:17], v[52:53]
	v_add_f64 v[58:59], v[58:59], -v[88:89]
	v_fma_f64 v[76:77], v[76:77], -0.5, v[16:17]
	v_fma_f64 v[90:91], v[74:75], s[16:17], v[96:97]
	v_fma_f64 v[96:97], v[84:85], s[4:5], v[98:99]
	v_add_f64 v[66:67], v[66:67], -v[68:69]
	v_fma_f64 v[16:17], v[22:23], -0.5, v[16:17]
	v_fma_f64 v[98:99], v[74:75], s[4:5], v[50:51]
	v_add_f64 v[18:19], v[20:21], v[18:19]
	v_fma_f64 v[20:21], v[74:75], s[14:15], v[50:51]
	v_add_f64 v[22:23], v[48:49], v[56:57]
	v_fma_f64 v[48:49], v[58:59], s[14:15], v[76:77]
	v_add_f64 v[50:51], v[52:53], -v[56:57]
	v_add_f64 v[68:69], v[60:61], -v[54:55]
	v_fma_f64 v[88:89], v[74:75], s[6:7], v[96:97]
	v_fma_f64 v[74:75], v[58:59], s[4:5], v[76:77]
	;; [unrolled: 1-line block ×3, first 2 shown]
	v_add_f64 v[52:53], v[56:57], -v[52:53]
	v_add_f64 v[56:57], v[54:55], -v[60:61]
	v_fma_f64 v[16:17], v[66:67], s[14:15], v[16:17]
	v_add_f64 v[86:87], v[86:87], v[119:120]
	v_fma_f64 v[96:97], v[84:85], s[16:17], v[98:99]
	v_fma_f64 v[20:21], v[84:85], s[6:7], v[20:21]
	v_add_f64 v[22:23], v[22:23], v[54:55]
	v_fma_f64 v[48:49], v[66:67], s[16:17], v[48:49]
	v_add_f64 v[50:51], v[50:51], v[68:69]
	v_fma_f64 v[54:55], v[66:67], s[6:7], v[74:75]
	v_fma_f64 v[66:67], v[58:59], s[16:17], v[76:77]
	v_add_f64 v[52:53], v[52:53], v[56:57]
	v_fma_f64 v[16:17], v[58:59], s[6:7], v[16:17]
	v_fma_f64 v[90:91], v[86:87], s[10:11], v[90:91]
	;; [unrolled: 1-line block ×5, first 2 shown]
	v_add_f64 v[20:21], v[22:23], v[60:61]
	v_fma_f64 v[22:23], v[50:51], s[10:11], v[48:49]
	v_fma_f64 v[48:49], v[52:53], s[10:11], v[66:67]
	;; [unrolled: 1-line block ×4, first 2 shown]
	s_waitcnt lgkmcnt(0)
	; wave barrier
	s_waitcnt lgkmcnt(0)
	ds_write2_b64 v108, v[64:65], v[70:71] offset1:24
	ds_write2_b64 v108, v[94:95], v[6:7] offset0:48 offset1:72
	ds_write_b64 v108, v[92:93] offset:768
	ds_write2_b64 v109, v[62:63], v[90:91] offset1:24
	ds_write2_b64 v109, v[58:59], v[18:19] offset0:48 offset1:72
	ds_write_b64 v109, v[56:57] offset:768
	;; [unrolled: 3-line block ×3, first 2 shown]
	s_waitcnt lgkmcnt(0)
	; wave barrier
	s_waitcnt lgkmcnt(0)
	ds_read2_b64 v[48:51], v104 offset1:120
	ds_read2_b64 v[60:63], v104 offset0:176 offset1:240
	ds_read2st64_b64 v[52:55], v111 offset0:4 offset1:5
	ds_read2st64_b64 v[56:59], v112 offset0:6 offset1:7
	;; [unrolled: 1-line block ×4, first 2 shown]
	ds_read_b64 v[84:85], v106
	ds_read_b64 v[86:87], v104 offset:6208
                                        ; implicit-def: $vgpr22_vgpr23
                                        ; implicit-def: $vgpr18_vgpr19
	s_and_saveexec_b64 s[4:5], s[0:1]
	s_cbranch_execz .LBB0_39
; %bb.38:
	v_add_u32_e32 v4, 0x400, v107
	v_add_u32_e32 v16, 0xc00, v107
	;; [unrolled: 1-line block ×3, first 2 shown]
	ds_read_b64 v[74:75], v105
	ds_read2_b64 v[4:7], v4 offset0:104 offset1:224
	ds_read2_b64 v[16:19], v16 offset0:88 offset1:208
	;; [unrolled: 1-line block ×3, first 2 shown]
.LBB0_39:
	s_or_b64 exec, exec, s[4:5]
	s_and_saveexec_b64 s[4:5], vcc
	s_cbranch_execz .LBB0_42
; %bb.40:
	v_mul_i32_i24_e32 v76, 6, v103
	v_mov_b32_e32 v77, 0
	v_lshlrev_b64 v[115:116], 4, v[76:77]
	v_mov_b32_e32 v76, s9
	v_mul_u32_u24_e32 v88, 6, v100
	v_add_co_u32_e32 v135, vcc, s8, v115
	v_lshlrev_b32_e32 v117, 4, v88
	v_addc_co_u32_e32 v136, vcc, v76, v116, vcc
	global_load_dwordx4 v[88:91], v117, s[8:9] offset:1904
	global_load_dwordx4 v[92:95], v117, s[8:9] offset:1952
	;; [unrolled: 1-line block ×6, first 2 shown]
	s_nop 0
	global_load_dwordx4 v[115:118], v[135:136], off offset:1968
	global_load_dwordx4 v[119:122], v[135:136], off offset:1888
	;; [unrolled: 1-line block ×5, first 2 shown]
	s_nop 0
	global_load_dwordx4 v[135:138], v[135:136], off offset:1936
	s_mov_b32 s22, 0xe976ee23
	s_mov_b32 s26, 0x37e14327
	;; [unrolled: 1-line block ×20, first 2 shown]
	s_waitcnt vmcnt(11) lgkmcnt(6)
	v_mul_f64 v[139:140], v[62:63], v[90:91]
	s_waitcnt vmcnt(10) lgkmcnt(3)
	v_mul_f64 v[141:142], v[70:71], v[94:95]
	;; [unrolled: 2-line block ×3, first 2 shown]
	v_mul_f64 v[117:118], v[82:83], v[117:118]
	s_waitcnt vmcnt(4)
	v_mul_f64 v[153:154], v[60:61], v[121:122]
	v_mul_f64 v[121:122], v[40:41], v[121:122]
	s_waitcnt vmcnt(3)
	v_mul_f64 v[155:156], v[64:65], v[125:126]
	;; [unrolled: 3-line block ×4, first 2 shown]
	s_waitcnt vmcnt(0)
	v_mul_f64 v[161:162], v[68:69], v[137:138]
	v_mul_f64 v[94:95], v[46:47], v[94:95]
	;; [unrolled: 1-line block ×5, first 2 shown]
	v_fma_f64 v[139:140], v[42:43], v[88:89], v[139:140]
	v_fma_f64 v[141:142], v[46:47], v[92:93], v[141:142]
	;; [unrolled: 1-line block ×3, first 2 shown]
	v_fma_f64 v[46:47], v[86:87], v[115:116], -v[117:118]
	v_fma_f64 v[40:41], v[40:41], v[119:120], v[153:154]
	v_fma_f64 v[60:61], v[60:61], v[119:120], -v[121:122]
	v_fma_f64 v[36:37], v[36:37], v[123:124], v[155:156]
	;; [unrolled: 2-line block ×3, first 2 shown]
	v_fma_f64 v[44:45], v[44:45], v[135:136], v[161:162]
	v_fma_f64 v[28:29], v[28:29], v[127:128], v[157:158]
	v_fma_f64 v[52:53], v[52:53], v[127:128], -v[129:130]
	v_fma_f64 v[56:57], v[56:57], v[131:132], -v[133:134]
	;; [unrolled: 1-line block ×4, first 2 shown]
	v_add_f64 v[86:87], v[40:41], -v[42:43]
	v_add_f64 v[115:116], v[60:61], v[46:47]
	v_add_f64 v[92:93], v[44:45], -v[32:33]
	v_add_f64 v[94:95], v[28:29], -v[36:37]
	v_add_f64 v[117:118], v[52:53], v[64:65]
	v_add_f64 v[40:41], v[40:41], v[42:43]
	v_add_f64 v[28:29], v[28:29], v[36:37]
	v_add_f64 v[119:120], v[68:69], v[56:57]
	v_add_f64 v[32:33], v[44:45], v[32:33]
	v_add_f64 v[36:37], v[60:61], -v[46:47]
	v_add_f64 v[42:43], v[68:69], -v[56:57]
	;; [unrolled: 1-line block ×5, first 2 shown]
	v_add_f64 v[56:57], v[92:93], v[94:95]
	v_add_f64 v[60:61], v[115:116], v[117:118]
	;; [unrolled: 1-line block ×3, first 2 shown]
	v_add_f64 v[64:65], v[115:116], -v[119:120]
	v_add_f64 v[68:69], v[119:120], -v[117:118]
	v_add_f64 v[121:122], v[40:41], -v[32:33]
	v_add_f64 v[115:116], v[117:118], -v[115:116]
	v_add_f64 v[117:118], v[32:33], -v[28:29]
	v_add_f64 v[28:29], v[28:29], -v[40:41]
	v_add_f64 v[123:124], v[36:37], -v[42:43]
	v_add_f64 v[40:41], v[42:43], -v[44:45]
	v_add_f64 v[42:43], v[42:43], v[44:45]
	v_add_f64 v[94:95], v[94:95], -v[86:87]
	v_add_f64 v[44:45], v[44:45], -v[36:37]
	v_add_f64 v[60:61], v[119:120], v[60:61]
	v_add_f64 v[32:33], v[32:33], v[92:93]
	v_mul_f64 v[52:53], v[52:53], s[22:23]
	v_add_f64 v[56:57], v[86:87], v[56:57]
	v_mul_f64 v[86:87], v[64:65], s[26:27]
	v_mul_f64 v[68:69], v[68:69], s[20:21]
	v_add_f64 v[36:37], v[36:37], v[42:43]
	v_mul_f64 v[92:93], v[94:95], s[16:17]
	v_mul_f64 v[119:120], v[121:122], s[26:27]
	;; [unrolled: 1-line block ×5, first 2 shown]
	v_add_f64 v[42:43], v[84:85], v[60:61]
	v_add_f64 v[40:41], v[78:79], v[32:33]
	v_mul_f64 v[143:144], v[50:51], v[98:99]
	v_mul_f64 v[145:146], v[66:67], v[105:106]
	;; [unrolled: 1-line block ×6, first 2 shown]
	v_fma_f64 v[64:65], v[64:65], s[26:27], v[68:69]
	v_fma_f64 v[78:79], v[115:116], s[18:19], -v[86:87]
	v_fma_f64 v[68:69], v[115:116], s[24:25], -v[68:69]
	;; [unrolled: 1-line block ×3, first 2 shown]
	v_fma_f64 v[46:47], v[46:47], s[10:11], v[52:53]
	v_fma_f64 v[52:53], v[94:95], s[16:17], -v[52:53]
	v_fma_f64 v[92:93], v[28:29], s[18:19], -v[119:120]
	;; [unrolled: 1-line block ×3, first 2 shown]
	v_fma_f64 v[94:95], v[123:124], s[10:11], v[125:126]
	v_fma_f64 v[60:61], v[60:61], s[6:7], v[42:43]
	;; [unrolled: 1-line block ×3, first 2 shown]
	v_fma_f64 v[115:116], v[123:124], s[14:15], -v[127:128]
	v_fma_f64 v[44:45], v[44:45], s[16:17], -v[125:126]
	v_fma_f64 v[82:83], v[34:35], v[107:108], v[147:148]
	v_fma_f64 v[86:87], v[121:122], s[26:27], v[117:118]
	;; [unrolled: 1-line block ×6, first 2 shown]
	v_add_f64 v[64:65], v[64:65], v[60:61]
	v_fma_f64 v[56:57], v[36:37], s[4:5], v[115:116]
	v_fma_f64 v[115:116], v[36:37], s[4:5], v[44:45]
	v_add_f64 v[78:79], v[78:79], v[60:61]
	v_add_f64 v[36:37], v[68:69], v[60:61]
	;; [unrolled: 1-line block ×3, first 2 shown]
	v_fma_f64 v[68:69], v[30:31], v[111:112], v[149:150]
	v_fma_f64 v[66:67], v[66:67], v[103:104], -v[105:106]
	v_fma_f64 v[98:99], v[50:51], v[96:97], -v[98:99]
	;; [unrolled: 1-line block ×3, first 2 shown]
	v_mul_f64 v[28:29], v[30:31], v[113:114]
	v_mul_f64 v[30:31], v[34:35], v[109:110]
	v_fma_f64 v[34:35], v[26:27], v[96:97], v[143:144]
	v_fma_f64 v[38:39], v[38:39], v[103:104], v[145:146]
	v_add_f64 v[86:87], v[86:87], v[32:33]
	v_add_f64 v[92:93], v[92:93], v[32:33]
	;; [unrolled: 1-line block ×4, first 2 shown]
	v_fma_f64 v[54:55], v[54:55], v[111:112], -v[28:29]
	v_fma_f64 v[58:59], v[58:59], v[107:108], -v[30:31]
	v_add_f64 v[111:112], v[139:140], v[141:142]
	v_add_f64 v[105:106], v[34:35], -v[38:39]
	v_add_f64 v[38:39], v[34:35], v[38:39]
	v_add_f64 v[88:89], v[82:83], -v[68:69]
	v_add_f64 v[90:91], v[139:140], -v[141:142]
	v_add_f64 v[28:29], v[84:85], v[78:79]
	v_add_f64 v[32:33], v[36:37], -v[52:53]
	v_add_f64 v[107:108], v[96:97], v[103:104]
	v_add_f64 v[109:110], v[58:59], v[54:55]
	;; [unrolled: 1-line block ×3, first 2 shown]
	v_add_f64 v[52:53], v[78:79], -v[84:85]
	v_add_f64 v[78:79], v[38:39], v[111:112]
	v_add_f64 v[68:69], v[82:83], v[68:69]
	v_add_f64 v[50:51], v[88:89], -v[90:91]
	v_add_f64 v[30:31], v[115:116], v[60:61]
	v_add_f64 v[34:35], v[60:61], -v[115:116]
	v_add_f64 v[60:61], v[109:110], v[107:108]
	v_add_f64 v[82:83], v[88:89], v[90:91]
	v_add_f64 v[58:59], v[58:59], -v[54:55]
	v_add_f64 v[62:63], v[62:63], -v[70:71]
	;; [unrolled: 1-line block ×3, first 2 shown]
	v_add_f64 v[70:71], v[68:69], v[78:79]
	v_add_f64 v[26:27], v[92:93], -v[56:57]
	v_add_f64 v[113:114], v[105:106], -v[88:89]
	v_mul_f64 v[119:120], v[50:51], s[22:23]
	v_add_f64 v[50:51], v[56:57], v[92:93]
	v_add_f64 v[56:57], v[48:49], v[60:61]
	v_add_f64 v[48:49], v[96:97], -v[109:110]
	v_add_f64 v[78:79], v[105:106], v[82:83]
	v_add_f64 v[82:83], v[68:69], -v[111:112]
	v_add_f64 v[66:67], v[98:99], -v[66:67]
	;; [unrolled: 1-line block ×3, first 2 shown]
	v_mul_f64 v[98:99], v[54:55], s[20:21]
	v_add_f64 v[54:55], v[24:25], v[70:71]
	v_add_f64 v[24:25], v[38:39], -v[68:69]
	v_fma_f64 v[84:85], v[113:114], s[10:11], v[119:120]
	v_mul_f64 v[92:93], v[48:49], s[26:27]
	v_mul_f64 v[68:69], v[82:83], s[20:21]
	v_add_f64 v[82:83], v[66:67], -v[58:59]
	v_mul_f64 v[88:89], v[88:89], s[22:23]
	v_add_f64 v[58:59], v[58:59], v[62:63]
	v_add_f64 v[90:91], v[90:91], -v[105:106]
	v_add_f64 v[62:63], v[62:63], -v[66:67]
	v_mul_f64 v[105:106], v[24:25], s[26:27]
	v_add_f64 v[96:97], v[103:104], -v[96:97]
	v_add_f64 v[38:39], v[111:112], -v[38:39]
	v_fma_f64 v[70:71], v[70:71], s[6:7], v[54:55]
	v_fma_f64 v[24:25], v[24:25], s[26:27], v[68:69]
	v_add_f64 v[58:59], v[66:67], v[58:59]
	v_fma_f64 v[109:110], v[78:79], s[4:5], v[84:85]
	v_mul_f64 v[103:104], v[62:63], s[16:17]
	v_fma_f64 v[62:63], v[62:63], s[16:17], -v[88:89]
	v_fma_f64 v[84:85], v[96:97], s[18:19], -v[92:93]
	;; [unrolled: 1-line block ×4, first 2 shown]
	v_mul_f64 v[66:67], v[90:91], s[16:17]
	v_fma_f64 v[60:61], v[60:61], s[6:7], v[56:57]
	v_fma_f64 v[48:49], v[48:49], s[26:27], v[98:99]
	;; [unrolled: 1-line block ×3, first 2 shown]
	v_add_f64 v[24:25], v[24:25], v[70:71]
	v_fma_f64 v[82:83], v[82:83], s[14:15], -v[103:104]
	v_add_f64 v[105:106], v[92:93], v[70:71]
	v_add_f64 v[38:39], v[38:39], v[70:71]
	v_fma_f64 v[70:71], v[58:59], s[4:5], v[62:63]
	v_fma_f64 v[66:67], v[113:114], s[14:15], -v[66:67]
	v_mad_u64_u32 v[113:114], s[28:29], s2, v100, 0
	v_add_f64 v[48:49], v[48:49], v[60:61]
	v_fma_f64 v[107:108], v[58:59], s[4:5], v[107:108]
	v_fma_f64 v[96:97], v[96:97], s[24:25], -v[98:99]
	v_add_f64 v[44:45], v[86:87], -v[94:95]
	v_fma_f64 v[111:112], v[58:59], s[4:5], v[82:83]
	v_add_f64 v[58:59], v[94:95], v[86:87]
	v_add_f64 v[82:83], v[70:71], v[38:39]
	v_add_f64 v[86:87], v[38:39], -v[70:71]
	v_mov_b32_e32 v38, v114
	v_mad_u64_u32 v[38:39], s[28:29], s3, v100, v[38:39]
	v_add_f64 v[46:47], v[117:118], v[64:65]
	v_add_f64 v[103:104], v[84:85], v[60:61]
	v_mov_b32_e32 v114, v38
	v_add_f64 v[88:89], v[96:97], v[60:61]
	v_add_f64 v[60:61], v[64:65], -v[117:118]
	v_add_f64 v[64:65], v[109:110], v[48:49]
	v_add_f64 v[62:63], v[24:25], -v[107:108]
	v_add_f64 v[96:97], v[48:49], -v[109:110]
	v_add_f64 v[94:95], v[107:108], v[24:25]
	v_mov_b32_e32 v25, s13
	v_add_u32_e32 v70, 0x78, v100
	v_add_co_u32_e32 v24, vcc, s12, v80
	v_lshlrev_b64 v[48:49], 4, v[113:114]
	v_mad_u64_u32 v[38:39], s[28:29], s2, v70, 0
	v_addc_co_u32_e32 v25, vcc, v25, v81, vcc
	v_add_co_u32_e32 v48, vcc, v24, v48
	v_addc_co_u32_e32 v49, vcc, v25, v49, vcc
	v_fma_f64 v[90:91], v[90:91], s[16:17], -v[119:120]
	global_store_dwordx4 v[48:49], v[54:57], off
	v_mad_u64_u32 v[70:71], s[12:13], s3, v70, v[39:40]
	v_add_u32_e32 v54, 0xf0, v100
	v_mad_u64_u32 v[48:49], s[12:13], s2, v54, 0
	v_fma_f64 v[98:99], v[78:79], s[4:5], v[66:67]
	v_mov_b32_e32 v39, v70
	v_mad_u64_u32 v[54:55], s[12:13], s3, v54, v[49:50]
	v_add_u32_e32 v57, 0x168, v100
	v_lshlrev_b64 v[38:39], 4, v[38:39]
	v_mad_u64_u32 v[55:56], s[12:13], s2, v57, 0
	v_fma_f64 v[78:79], v[78:79], s[4:5], v[90:91]
	v_add_co_u32_e32 v38, vcc, v24, v38
	v_addc_co_u32_e32 v39, vcc, v25, v39, vcc
	v_mov_b32_e32 v49, v54
	global_store_dwordx4 v[38:39], v[94:97], off
	v_lshlrev_b64 v[38:39], 4, v[48:49]
	v_mov_b32_e32 v48, v56
	v_add_f64 v[92:93], v[103:104], -v[98:99]
	v_add_f64 v[90:91], v[111:112], v[105:106]
	v_mad_u64_u32 v[48:49], s[12:13], s3, v57, v[48:49]
	v_add_u32_e32 v54, 0x1e0, v100
	v_add_f64 v[84:85], v[88:89], -v[78:79]
	v_mov_b32_e32 v56, v48
	v_mad_u64_u32 v[48:49], s[12:13], s2, v54, 0
	v_add_f64 v[88:89], v[78:79], v[88:89]
	v_add_co_u32_e32 v38, vcc, v24, v38
	v_addc_co_u32_e32 v39, vcc, v25, v39, vcc
	global_store_dwordx4 v[38:39], v[90:93], off
	v_lshlrev_b64 v[38:39], 4, v[55:56]
	v_mad_u64_u32 v[54:55], s[12:13], s3, v54, v[49:50]
	v_add_u32_e32 v57, 0x258, v100
	v_mad_u64_u32 v[55:56], s[12:13], s2, v57, 0
	v_add_co_u32_e32 v38, vcc, v24, v38
	v_addc_co_u32_e32 v39, vcc, v25, v39, vcc
	v_mov_b32_e32 v49, v54
	global_store_dwordx4 v[38:39], v[86:89], off
	v_lshlrev_b64 v[38:39], 4, v[48:49]
	v_mov_b32_e32 v48, v56
	v_mad_u64_u32 v[48:49], s[12:13], s3, v57, v[48:49]
	v_add_u32_e32 v54, 0x2d0, v100
	v_add_co_u32_e32 v38, vcc, v24, v38
	v_mov_b32_e32 v56, v48
	v_mad_u64_u32 v[48:49], s[12:13], s2, v54, 0
	v_addc_co_u32_e32 v39, vcc, v25, v39, vcc
	s_mov_b32 s12, 0x88888889
	global_store_dwordx4 v[38:39], v[82:85], off
	v_lshlrev_b64 v[38:39], 4, v[55:56]
	v_mul_hi_u32 v56, v102, s12
	v_add_f64 v[68:69], v[98:99], v[103:104]
	v_add_f64 v[66:67], v[105:106], -v[111:112]
	s_movk_i32 s28, 0x2d0
	v_mad_u64_u32 v[54:55], s[12:13], s3, v54, v[49:50]
	v_lshrrev_b32_e32 v49, 6, v56
	v_mad_u32_u24 v57, v49, s28, v102
	v_mad_u64_u32 v[55:56], s[12:13], s2, v57, 0
	v_add_co_u32_e32 v38, vcc, v24, v38
	v_addc_co_u32_e32 v39, vcc, v25, v39, vcc
	v_mov_b32_e32 v49, v54
	global_store_dwordx4 v[38:39], v[66:69], off
	v_lshlrev_b64 v[38:39], 4, v[48:49]
	v_mov_b32_e32 v48, v56
	v_mad_u64_u32 v[48:49], s[12:13], s3, v57, v[48:49]
	v_add_u32_e32 v54, 0x78, v57
	v_add_co_u32_e32 v38, vcc, v24, v38
	v_mov_b32_e32 v56, v48
	v_mad_u64_u32 v[48:49], s[12:13], s2, v54, 0
	v_addc_co_u32_e32 v39, vcc, v25, v39, vcc
	global_store_dwordx4 v[38:39], v[62:65], off
	v_lshlrev_b64 v[38:39], 4, v[55:56]
	v_mad_u64_u32 v[54:55], s[12:13], s3, v54, v[49:50]
	v_add_u32_e32 v62, 0xf0, v57
	v_mad_u64_u32 v[55:56], s[12:13], s2, v62, 0
	v_add_co_u32_e32 v38, vcc, v24, v38
	v_addc_co_u32_e32 v39, vcc, v25, v39, vcc
	global_store_dwordx4 v[38:39], v[40:43], off
	v_mov_b32_e32 v49, v54
	v_mov_b32_e32 v40, v56
	v_mad_u64_u32 v[40:41], s[12:13], s3, v62, v[40:41]
	v_add_u32_e32 v42, 0x168, v57
	v_lshlrev_b64 v[38:39], 4, v[48:49]
	v_mov_b32_e32 v56, v40
	v_mad_u64_u32 v[40:41], s[12:13], s2, v42, 0
	v_add_co_u32_e32 v38, vcc, v24, v38
	v_addc_co_u32_e32 v39, vcc, v25, v39, vcc
	global_store_dwordx4 v[38:39], v[58:61], off
	v_lshlrev_b64 v[38:39], 4, v[55:56]
	v_mad_u64_u32 v[41:42], s[12:13], s3, v42, v[41:42]
	v_add_co_u32_e32 v38, vcc, v24, v38
	v_addc_co_u32_e32 v39, vcc, v25, v39, vcc
	v_add_u32_e32 v48, 0x1e0, v57
	v_mad_u64_u32 v[42:43], s[12:13], s2, v48, 0
	global_store_dwordx4 v[38:39], v[50:53], off
	v_lshlrev_b64 v[38:39], 4, v[40:41]
	v_mov_b32_e32 v40, v43
	v_add_co_u32_e32 v38, vcc, v24, v38
	v_addc_co_u32_e32 v39, vcc, v25, v39, vcc
	global_store_dwordx4 v[38:39], v[34:37], off
	v_add_u32_e32 v38, 0x258, v57
	v_mad_u64_u32 v[40:41], s[12:13], s3, v48, v[40:41]
	v_mad_u64_u32 v[36:37], s[12:13], s2, v38, 0
	v_mov_b32_e32 v43, v40
	v_add_u32_e32 v40, 0x2d0, v57
	v_mad_u64_u32 v[37:38], s[12:13], s3, v38, v[37:38]
	v_lshlrev_b64 v[34:35], 4, v[42:43]
	v_mad_u64_u32 v[38:39], s[12:13], s2, v40, 0
	v_add_co_u32_e32 v34, vcc, v24, v34
	v_addc_co_u32_e32 v35, vcc, v25, v35, vcc
	global_store_dwordx4 v[34:35], v[30:33], off
	s_nop 0
	v_mov_b32_e32 v32, v39
	v_mad_u64_u32 v[32:33], s[12:13], s3, v40, v[32:33]
	v_lshlrev_b64 v[30:31], 4, v[36:37]
	v_add_co_u32_e32 v30, vcc, v24, v30
	v_addc_co_u32_e32 v31, vcc, v25, v31, vcc
	v_mov_b32_e32 v39, v32
	global_store_dwordx4 v[30:31], v[26:29], off
	s_nop 0
	v_lshlrev_b64 v[26:27], 4, v[38:39]
	v_add_co_u32_e32 v26, vcc, v24, v26
	v_addc_co_u32_e32 v27, vcc, v25, v27, vcc
	global_store_dwordx4 v[26:27], v[44:47], off
	s_and_b64 exec, exec, s[0:1]
	s_cbranch_execz .LBB0_42
; %bb.41:
	v_add_u32_e32 v26, -8, v100
	v_cndmask_b32_e64 v26, v26, v101, s[0:1]
	v_mul_i32_i24_e32 v76, 6, v26
	v_lshlrev_b64 v[26:27], 4, v[76:77]
	v_mov_b32_e32 v28, s9
	v_add_co_u32_e32 v50, vcc, s8, v26
	v_addc_co_u32_e32 v51, vcc, v28, v27, vcc
	global_load_dwordx4 v[26:29], v[50:51], off offset:1888
	global_load_dwordx4 v[30:33], v[50:51], off offset:1904
	;; [unrolled: 1-line block ×6, first 2 shown]
	v_or_b32_e32 v56, 0x70, v100
	v_or_b32_e32 v58, 0xe8, v100
	;; [unrolled: 1-line block ×3, first 2 shown]
	v_mad_u64_u32 v[50:51], s[0:1], s2, v56, 0
	v_mad_u64_u32 v[52:53], s[0:1], s2, v58, 0
	;; [unrolled: 1-line block ×6, first 2 shown]
	v_mov_b32_e32 v51, v56
	v_mov_b32_e32 v53, v57
	v_lshlrev_b64 v[50:51], 4, v[50:51]
	v_or_b32_e32 v71, 0x1d8, v100
	v_add_co_u32_e32 v50, vcc, v24, v50
	v_addc_co_u32_e32 v51, vcc, v25, v51, vcc
	v_mad_u64_u32 v[59:60], s[0:1], s2, v71, 0
	v_lshlrev_b64 v[52:53], 4, v[52:53]
	v_mov_b32_e32 v55, v58
	v_lshlrev_b64 v[54:55], 4, v[54:55]
	s_waitcnt vmcnt(5)
	v_mul_f64 v[56:57], v[4:5], v[28:29]
	v_mul_f64 v[28:29], v[0:1], v[28:29]
	s_waitcnt vmcnt(4)
	v_mul_f64 v[61:62], v[6:7], v[32:33]
	v_mul_f64 v[32:33], v[2:3], v[32:33]
	;; [unrolled: 3-line block ×4, first 2 shown]
	v_mul_f64 v[63:64], v[16:17], v[36:37]
	v_mul_f64 v[36:37], v[8:9], v[36:37]
	;; [unrolled: 1-line block ×4, first 2 shown]
	v_fma_f64 v[0:1], v[0:1], v[26:27], v[56:57]
	v_fma_f64 v[4:5], v[4:5], v[26:27], -v[28:29]
	v_fma_f64 v[2:3], v[2:3], v[30:31], v[61:62]
	v_fma_f64 v[6:7], v[6:7], v[30:31], -v[32:33]
	;; [unrolled: 2-line block ×6, first 2 shown]
	v_add_f64 v[26:27], v[0:1], v[14:15]
	v_add_f64 v[28:29], v[4:5], v[22:23]
	v_add_f64 v[0:1], v[0:1], -v[14:15]
	v_add_f64 v[4:5], v[4:5], -v[22:23]
	v_add_f64 v[14:15], v[2:3], v[12:13]
	v_add_f64 v[22:23], v[6:7], v[20:21]
	v_add_f64 v[2:3], v[2:3], -v[12:13]
	v_add_f64 v[6:7], v[6:7], -v[20:21]
	;; [unrolled: 4-line block ×4, first 2 shown]
	v_add_f64 v[26:27], v[26:27], -v[12:13]
	v_add_f64 v[28:29], v[28:29], -v[20:21]
	;; [unrolled: 1-line block ×4, first 2 shown]
	v_add_f64 v[34:35], v[8:9], v[2:3]
	v_add_f64 v[36:37], v[10:11], v[6:7]
	v_add_f64 v[38:39], v[8:9], -v[2:3]
	v_add_f64 v[40:41], v[10:11], -v[6:7]
	v_add_f64 v[12:13], v[12:13], v[16:17]
	v_add_f64 v[16:17], v[20:21], v[18:19]
	v_add_f64 v[8:9], v[0:1], -v[8:9]
	v_add_f64 v[10:11], v[4:5], -v[10:11]
	;; [unrolled: 1-line block ×4, first 2 shown]
	v_add_f64 v[18:19], v[34:35], v[0:1]
	v_add_f64 v[4:5], v[36:37], v[4:5]
	v_mul_f64 v[20:21], v[26:27], s[26:27]
	v_mul_f64 v[26:27], v[28:29], s[26:27]
	;; [unrolled: 1-line block ×6, first 2 shown]
	v_add_f64 v[0:1], v[72:73], v[12:13]
	v_add_f64 v[2:3], v[74:75], v[16:17]
	v_fma_f64 v[14:15], v[14:15], s[20:21], v[20:21]
	v_fma_f64 v[22:23], v[22:23], s[20:21], v[26:27]
	v_fma_f64 v[28:29], v[30:31], s[24:25], -v[28:29]
	v_fma_f64 v[34:35], v[32:33], s[24:25], -v[34:35]
	;; [unrolled: 1-line block ×4, first 2 shown]
	v_fma_f64 v[30:31], v[8:9], s[10:11], v[36:37]
	v_fma_f64 v[32:33], v[10:11], s[10:11], v[38:39]
	;; [unrolled: 1-line block ×4, first 2 shown]
	v_mul_f64 v[40:41], v[42:43], s[16:17]
	v_mul_f64 v[44:45], v[6:7], s[16:17]
	v_fma_f64 v[36:37], v[42:43], s[16:17], -v[36:37]
	global_store_dwordx4 v[50:51], v[0:3], off
	v_fma_f64 v[30:31], v[18:19], s[4:5], v[30:31]
	v_fma_f64 v[32:33], v[4:5], s[4:5], v[32:33]
	v_add_f64 v[42:43], v[14:15], v[12:13]
	v_add_f64 v[22:23], v[22:23], v[16:17]
	v_fma_f64 v[8:9], v[8:9], s[14:15], -v[40:41]
	v_fma_f64 v[10:11], v[10:11], s[14:15], -v[44:45]
	;; [unrolled: 1-line block ×3, first 2 shown]
	v_fma_f64 v[36:37], v[18:19], s[4:5], v[36:37]
	v_add_f64 v[20:21], v[20:21], v[12:13]
	v_add_f64 v[26:27], v[26:27], v[16:17]
	;; [unrolled: 1-line block ×3, first 2 shown]
	v_add_f64 v[2:3], v[22:23], -v[30:31]
	v_fma_f64 v[18:19], v[18:19], s[4:5], v[8:9]
	v_fma_f64 v[40:41], v[4:5], s[4:5], v[10:11]
	v_add_f64 v[14:15], v[28:29], v[12:13]
	v_add_f64 v[28:29], v[34:35], v[16:17]
	v_add_co_u32_e32 v34, vcc, v24, v52
	v_addc_co_u32_e32 v35, vcc, v25, v53, vcc
	global_store_dwordx4 v[34:35], v[0:3], off
	v_fma_f64 v[38:39], v[4:5], s[4:5], v[6:7]
	v_mov_b32_e32 v2, v60
	v_mad_u64_u32 v[2:3], s[0:1], s3, v71, v[2:3]
	v_or_b32_e32 v3, 0x250, v100
	v_add_f64 v[4:5], v[40:41], v[20:21]
	v_add_f64 v[6:7], v[26:27], -v[18:19]
	v_add_f64 v[18:19], v[18:19], v[26:27]
	v_mad_u64_u32 v[26:27], s[0:1], s2, v3, 0
	v_mov_b32_e32 v60, v2
	v_add_f64 v[8:9], v[14:15], -v[38:39]
	v_mov_b32_e32 v2, v27
	v_mad_u64_u32 v[2:3], s[0:1], s3, v3, v[2:3]
	v_add_f64 v[10:11], v[36:37], v[28:29]
	v_add_co_u32_e32 v0, vcc, v24, v54
	v_addc_co_u32_e32 v1, vcc, v25, v55, vcc
	global_store_dwordx4 v[0:1], v[4:7], off
	v_mov_b32_e32 v27, v2
	v_or_b32_e32 v4, 0x2c8, v100
	v_mad_u64_u32 v[2:3], s[0:1], s2, v4, 0
	v_add_f64 v[12:13], v[38:39], v[14:15]
	v_add_f64 v[14:15], v[28:29], -v[36:37]
	v_lshlrev_b64 v[0:1], 4, v[59:60]
	v_mad_u64_u32 v[3:4], s[0:1], s3, v4, v[3:4]
	v_add_co_u32_e32 v0, vcc, v24, v0
	v_addc_co_u32_e32 v1, vcc, v25, v1, vcc
	v_or_b32_e32 v6, 0x340, v100
	global_store_dwordx4 v[0:1], v[8:11], off
	v_lshlrev_b64 v[0:1], 4, v[26:27]
	v_mad_u64_u32 v[4:5], s[0:1], s2, v6, 0
	v_add_f64 v[16:17], v[20:21], -v[40:41]
	v_add_co_u32_e32 v0, vcc, v24, v0
	v_addc_co_u32_e32 v1, vcc, v25, v1, vcc
	global_store_dwordx4 v[0:1], v[12:15], off
	v_lshlrev_b64 v[0:1], 4, v[2:3]
	v_mov_b32_e32 v2, v5
	v_mad_u64_u32 v[2:3], s[0:1], s3, v6, v[2:3]
	v_add_f64 v[20:21], v[42:43], -v[32:33]
	v_add_f64 v[22:23], v[30:31], v[22:23]
	v_add_co_u32_e32 v0, vcc, v24, v0
	v_addc_co_u32_e32 v1, vcc, v25, v1, vcc
	v_mov_b32_e32 v5, v2
	global_store_dwordx4 v[0:1], v[16:19], off
	v_lshlrev_b64 v[0:1], 4, v[4:5]
	v_add_co_u32_e32 v0, vcc, v24, v0
	v_addc_co_u32_e32 v1, vcc, v25, v1, vcc
	global_store_dwordx4 v[0:1], v[20:23], off
.LBB0_42:
	s_endpgm
	.section	.rodata,"a",@progbits
	.p2align	6, 0x0
	.amdhsa_kernel fft_rtc_back_len840_factors_2_2_2_3_5_7_wgs_56_tpt_56_halfLds_dp_ip_CI_sbrr_dirReg
		.amdhsa_group_segment_fixed_size 0
		.amdhsa_private_segment_fixed_size 0
		.amdhsa_kernarg_size 88
		.amdhsa_user_sgpr_count 6
		.amdhsa_user_sgpr_private_segment_buffer 1
		.amdhsa_user_sgpr_dispatch_ptr 0
		.amdhsa_user_sgpr_queue_ptr 0
		.amdhsa_user_sgpr_kernarg_segment_ptr 1
		.amdhsa_user_sgpr_dispatch_id 0
		.amdhsa_user_sgpr_flat_scratch_init 0
		.amdhsa_user_sgpr_private_segment_size 0
		.amdhsa_uses_dynamic_stack 0
		.amdhsa_system_sgpr_private_segment_wavefront_offset 0
		.amdhsa_system_sgpr_workgroup_id_x 1
		.amdhsa_system_sgpr_workgroup_id_y 0
		.amdhsa_system_sgpr_workgroup_id_z 0
		.amdhsa_system_sgpr_workgroup_info 0
		.amdhsa_system_vgpr_workitem_id 0
		.amdhsa_next_free_vgpr 163
		.amdhsa_next_free_sgpr 30
		.amdhsa_reserve_vcc 1
		.amdhsa_reserve_flat_scratch 0
		.amdhsa_float_round_mode_32 0
		.amdhsa_float_round_mode_16_64 0
		.amdhsa_float_denorm_mode_32 3
		.amdhsa_float_denorm_mode_16_64 3
		.amdhsa_dx10_clamp 1
		.amdhsa_ieee_mode 1
		.amdhsa_fp16_overflow 0
		.amdhsa_exception_fp_ieee_invalid_op 0
		.amdhsa_exception_fp_denorm_src 0
		.amdhsa_exception_fp_ieee_div_zero 0
		.amdhsa_exception_fp_ieee_overflow 0
		.amdhsa_exception_fp_ieee_underflow 0
		.amdhsa_exception_fp_ieee_inexact 0
		.amdhsa_exception_int_div_zero 0
	.end_amdhsa_kernel
	.text
.Lfunc_end0:
	.size	fft_rtc_back_len840_factors_2_2_2_3_5_7_wgs_56_tpt_56_halfLds_dp_ip_CI_sbrr_dirReg, .Lfunc_end0-fft_rtc_back_len840_factors_2_2_2_3_5_7_wgs_56_tpt_56_halfLds_dp_ip_CI_sbrr_dirReg
                                        ; -- End function
	.section	.AMDGPU.csdata,"",@progbits
; Kernel info:
; codeLenInByte = 13464
; NumSgprs: 34
; NumVgprs: 163
; ScratchSize: 0
; MemoryBound: 1
; FloatMode: 240
; IeeeMode: 1
; LDSByteSize: 0 bytes/workgroup (compile time only)
; SGPRBlocks: 4
; VGPRBlocks: 40
; NumSGPRsForWavesPerEU: 34
; NumVGPRsForWavesPerEU: 163
; Occupancy: 1
; WaveLimiterHint : 1
; COMPUTE_PGM_RSRC2:SCRATCH_EN: 0
; COMPUTE_PGM_RSRC2:USER_SGPR: 6
; COMPUTE_PGM_RSRC2:TRAP_HANDLER: 0
; COMPUTE_PGM_RSRC2:TGID_X_EN: 1
; COMPUTE_PGM_RSRC2:TGID_Y_EN: 0
; COMPUTE_PGM_RSRC2:TGID_Z_EN: 0
; COMPUTE_PGM_RSRC2:TIDIG_COMP_CNT: 0
	.type	__hip_cuid_7e4e8a481088a450,@object ; @__hip_cuid_7e4e8a481088a450
	.section	.bss,"aw",@nobits
	.globl	__hip_cuid_7e4e8a481088a450
__hip_cuid_7e4e8a481088a450:
	.byte	0                               ; 0x0
	.size	__hip_cuid_7e4e8a481088a450, 1

	.ident	"AMD clang version 19.0.0git (https://github.com/RadeonOpenCompute/llvm-project roc-6.4.0 25133 c7fe45cf4b819c5991fe208aaa96edf142730f1d)"
	.section	".note.GNU-stack","",@progbits
	.addrsig
	.addrsig_sym __hip_cuid_7e4e8a481088a450
	.amdgpu_metadata
---
amdhsa.kernels:
  - .args:
      - .actual_access:  read_only
        .address_space:  global
        .offset:         0
        .size:           8
        .value_kind:     global_buffer
      - .offset:         8
        .size:           8
        .value_kind:     by_value
      - .actual_access:  read_only
        .address_space:  global
        .offset:         16
        .size:           8
        .value_kind:     global_buffer
      - .actual_access:  read_only
        .address_space:  global
        .offset:         24
        .size:           8
        .value_kind:     global_buffer
      - .offset:         32
        .size:           8
        .value_kind:     by_value
      - .actual_access:  read_only
        .address_space:  global
        .offset:         40
        .size:           8
        .value_kind:     global_buffer
      - .actual_access:  read_only
        .address_space:  global
        .offset:         48
        .size:           8
        .value_kind:     global_buffer
      - .offset:         56
        .size:           4
        .value_kind:     by_value
      - .actual_access:  read_only
        .address_space:  global
        .offset:         64
        .size:           8
        .value_kind:     global_buffer
      - .actual_access:  read_only
        .address_space:  global
        .offset:         72
        .size:           8
        .value_kind:     global_buffer
      - .address_space:  global
        .offset:         80
        .size:           8
        .value_kind:     global_buffer
    .group_segment_fixed_size: 0
    .kernarg_segment_align: 8
    .kernarg_segment_size: 88
    .language:       OpenCL C
    .language_version:
      - 2
      - 0
    .max_flat_workgroup_size: 56
    .name:           fft_rtc_back_len840_factors_2_2_2_3_5_7_wgs_56_tpt_56_halfLds_dp_ip_CI_sbrr_dirReg
    .private_segment_fixed_size: 0
    .sgpr_count:     34
    .sgpr_spill_count: 0
    .symbol:         fft_rtc_back_len840_factors_2_2_2_3_5_7_wgs_56_tpt_56_halfLds_dp_ip_CI_sbrr_dirReg.kd
    .uniform_work_group_size: 1
    .uses_dynamic_stack: false
    .vgpr_count:     163
    .vgpr_spill_count: 0
    .wavefront_size: 64
amdhsa.target:   amdgcn-amd-amdhsa--gfx906
amdhsa.version:
  - 1
  - 2
...

	.end_amdgpu_metadata
